;; amdgpu-corpus repo=ROCm/rocFFT kind=compiled arch=gfx1201 opt=O3
	.text
	.amdgcn_target "amdgcn-amd-amdhsa--gfx1201"
	.amdhsa_code_object_version 6
	.protected	fft_rtc_back_len208_factors_13_16_wgs_144_tpt_16_dp_ip_CI_sbcc_twdbase6_3step ; -- Begin function fft_rtc_back_len208_factors_13_16_wgs_144_tpt_16_dp_ip_CI_sbcc_twdbase6_3step
	.globl	fft_rtc_back_len208_factors_13_16_wgs_144_tpt_16_dp_ip_CI_sbcc_twdbase6_3step
	.p2align	8
	.type	fft_rtc_back_len208_factors_13_16_wgs_144_tpt_16_dp_ip_CI_sbcc_twdbase6_3step,@function
fft_rtc_back_len208_factors_13_16_wgs_144_tpt_16_dp_ip_CI_sbcc_twdbase6_3step: ; @fft_rtc_back_len208_factors_13_16_wgs_144_tpt_16_dp_ip_CI_sbcc_twdbase6_3step
; %bb.0:
	s_clause 0x1
	s_load_b64 s[12:13], s[0:1], 0x0
	s_load_b256 s[4:11], s[0:1], 0x8
	s_mov_b32 s3, exec_lo
	v_cmpx_gt_u32_e32 0xc0, v0
	s_cbranch_execz .LBB0_3
; %bb.1:
	v_lshlrev_b32_e32 v5, 4, v0
	v_add_co_u32 v1, s2, 0xffffff70, v0
	s_delay_alu instid0(VALU_DEP_1) | instskip(SKIP_1) | instid1(VALU_DEP_3)
	v_add_co_ci_u32_e64 v2, null, 0, -1, s2
	s_wait_kmcnt 0x0
	v_add_co_u32 v3, s2, s4, v5
	s_wait_alu 0xf1ff
	v_add_co_ci_u32_e64 v4, null, s5, 0, s2
	v_add3_u32 v5, v5, 0, 0x7500
	s_mov_b32 s4, 0
.LBB0_2:                                ; =>This Inner Loop Header: Depth=1
	global_load_b128 v[6:9], v[3:4], off
	v_add_co_u32 v1, vcc_lo, 0x90, v1
	s_wait_alu 0xfffd
	v_add_co_ci_u32_e32 v2, vcc_lo, 0, v2, vcc_lo
	v_add_co_u32 v3, vcc_lo, 0x900, v3
	s_wait_alu 0xfffd
	v_add_co_ci_u32_e32 v4, vcc_lo, 0, v4, vcc_lo
	s_delay_alu instid0(VALU_DEP_3) | instskip(SKIP_1) | instid1(VALU_DEP_1)
	v_cmp_lt_u64_e64 s2, 47, v[1:2]
	s_wait_alu 0xfffe
	s_or_b32 s4, s2, s4
	s_wait_loadcnt 0x0
	ds_store_2addr_b64 v5, v[6:7], v[8:9] offset1:1
	v_add_nc_u32_e32 v5, 0x900, v5
	s_wait_alu 0xfffe
	s_and_not1_b32 exec_lo, exec_lo, s4
	s_cbranch_execnz .LBB0_2
.LBB0_3:
	s_or_b32 exec_lo, exec_lo, s3
	s_mov_b32 s19, 0
	s_wait_kmcnt 0x0
	s_load_b64 s[4:5], s[0:1], 0x58
	s_mov_b32 s0, 0x71c4fc00
	s_movk_i32 s1, 0x7c
	s_mov_b32 s18, s19
	s_load_b64 s[16:17], s[8:9], 0x8
	s_add_nc_u64 s[0:1], s[18:19], s[0:1]
	s_mov_b64 s[24:25], 0
	s_add_co_i32 s1, s1, 0x1c71c6a0
	s_delay_alu instid0(SALU_CYCLE_1)
	s_mul_u64 s[2:3], s[0:1], -9
	s_wait_alu 0xfffe
	s_mul_hi_u32 s15, s0, s3
	s_mul_i32 s14, s0, s3
	s_mul_hi_u32 s18, s0, s2
	s_mul_hi_u32 s20, s1, s2
	s_mul_i32 s2, s1, s2
	s_add_nc_u64 s[14:15], s[18:19], s[14:15]
	s_mul_hi_u32 s21, s1, s3
	s_wait_alu 0xfffe
	s_add_co_u32 s2, s14, s2
	s_add_co_ci_u32 s18, s15, s20
	s_add_co_ci_u32 s15, s21, 0
	s_mul_i32 s14, s1, s3
	s_delay_alu instid0(SALU_CYCLE_1) | instskip(SKIP_4) | instid1(VALU_DEP_1)
	s_add_nc_u64 s[2:3], s[18:19], s[14:15]
	s_wait_kmcnt 0x0
	s_add_nc_u64 s[14:15], s[16:17], -1
	s_wait_alu 0xfffe
	v_add_co_u32 v1, s0, s0, s2
	s_cmp_lg_u32 s0, 0
	s_add_co_ci_u32 s2, s1, s3
	s_delay_alu instid0(VALU_DEP_1)
	v_readfirstlane_b32 s3, v1
	s_wait_alu 0xfffe
	s_mul_hi_u32 s1, s14, s2
	s_mul_i32 s0, s14, s2
	s_mul_hi_u32 s20, s15, s2
	s_mul_i32 s2, s15, s2
	;; [unrolled: 2-line block ×3, first 2 shown]
	s_wait_alu 0xfffe
	s_add_nc_u64 s[0:1], s[18:19], s[0:1]
	s_mul_hi_u32 s3, s15, s3
	s_wait_alu 0xfffe
	s_add_co_u32 s0, s0, s21
	s_add_co_ci_u32 s18, s1, s3
	s_add_co_ci_u32 s3, s20, 0
	s_wait_alu 0xfffe
	s_add_nc_u64 s[0:1], s[18:19], s[2:3]
	s_wait_alu 0xfffe
	s_mul_u64 s[2:3], s[0:1], 9
	s_wait_alu 0xfffe
	v_sub_co_u32 v1, s2, s14, s2
	s_delay_alu instid0(VALU_DEP_1) | instskip(SKIP_1) | instid1(VALU_DEP_1)
	s_cmp_lg_u32 s2, 0
	s_sub_co_ci_u32 s18, s15, s3
	v_sub_co_u32 v2, s14, v1, 9
	s_delay_alu instid0(VALU_DEP_1) | instskip(SKIP_2) | instid1(VALU_DEP_2)
	s_cmp_lg_u32 s14, 0
	v_readfirstlane_b32 s21, v1
	s_sub_co_ci_u32 s14, s18, 0
	v_readfirstlane_b32 s2, v2
	s_delay_alu instid0(VALU_DEP_1)
	s_cmp_gt_u32 s2, 8
	s_add_nc_u64 s[2:3], s[0:1], 1
	s_cselect_b32 s20, -1, 0
	s_wait_alu 0xfffe
	s_cmp_eq_u32 s14, 0
	s_add_nc_u64 s[14:15], s[0:1], 2
	s_cselect_b32 s20, s20, -1
	s_delay_alu instid0(SALU_CYCLE_1)
	s_cmp_lg_u32 s20, 0
	s_wait_alu 0xfffe
	s_cselect_b32 s2, s14, s2
	s_cselect_b32 s3, s15, s3
	s_cmp_gt_u32 s21, 8
	s_cselect_b32 s14, -1, 0
	s_cmp_eq_u32 s18, 0
	s_mov_b32 s18, ttmp9
	s_wait_alu 0xfffe
	s_cselect_b32 s14, s14, -1
	s_wait_alu 0xfffe
	s_cmp_lg_u32 s14, 0
	s_cselect_b32 s1, s3, s1
	s_cselect_b32 s0, s2, s0
	s_wait_alu 0xfffe
	s_add_nc_u64 s[22:23], s[0:1], 1
	s_delay_alu instid0(SALU_CYCLE_1) | instskip(NEXT) | instid1(VALU_DEP_1)
	v_cmp_lt_u64_e64 s0, s[18:19], s[22:23]
	s_and_b32 vcc_lo, exec_lo, s0
	s_wait_alu 0xfffe
	s_cbranch_vccnz .LBB0_5
; %bb.4:
	v_cvt_f32_u32_e32 v1, s22
	s_sub_co_i32 s1, 0, s22
	s_mov_b32 s25, s19
	s_delay_alu instid0(VALU_DEP_1) | instskip(NEXT) | instid1(TRANS32_DEP_1)
	v_rcp_iflag_f32_e32 v1, v1
	v_mul_f32_e32 v1, 0x4f7ffffe, v1
	s_delay_alu instid0(VALU_DEP_1) | instskip(NEXT) | instid1(VALU_DEP_1)
	v_cvt_u32_f32_e32 v1, v1
	v_readfirstlane_b32 s0, v1
	s_wait_alu 0xfffe
	s_delay_alu instid0(VALU_DEP_1)
	s_mul_i32 s1, s1, s0
	s_wait_alu 0xfffe
	s_mul_hi_u32 s1, s0, s1
	s_wait_alu 0xfffe
	s_add_co_i32 s0, s0, s1
	s_wait_alu 0xfffe
	s_mul_hi_u32 s0, s18, s0
	s_wait_alu 0xfffe
	s_mul_i32 s1, s0, s22
	s_add_co_i32 s2, s0, 1
	s_wait_alu 0xfffe
	s_sub_co_i32 s1, s18, s1
	s_wait_alu 0xfffe
	s_sub_co_i32 s3, s1, s22
	s_cmp_ge_u32 s1, s22
	s_cselect_b32 s0, s2, s0
	s_wait_alu 0xfffe
	s_cselect_b32 s1, s3, s1
	s_add_co_i32 s2, s0, 1
	s_wait_alu 0xfffe
	s_cmp_ge_u32 s1, s22
	s_cselect_b32 s24, s2, s0
.LBB0_5:
	s_load_b128 s[0:3], s[10:11], 0x0
	v_cmp_lt_u64_e64 s20, s[6:7], 3
	s_mul_u64 s[14:15], s[24:25], s[22:23]
	s_wait_alu 0xfffe
	s_sub_nc_u64 s[14:15], s[18:19], s[14:15]
	s_wait_alu 0xfffe
	s_mul_u64 s[14:15], s[14:15], 9
	s_and_b32 vcc_lo, exec_lo, s20
	s_wait_kmcnt 0x0
	s_wait_alu 0xfffe
	s_mul_u64 s[20:21], s[2:3], s[14:15]
	s_cbranch_vccnz .LBB0_15
; %bb.6:
	s_add_nc_u64 s[26:27], s[10:11], 16
	s_add_nc_u64 s[8:9], s[8:9], 16
	s_mov_b64 s[28:29], 2
	s_mov_b32 s30, 0
.LBB0_7:                                ; =>This Inner Loop Header: Depth=1
	s_load_b64 s[34:35], s[8:9], 0x0
                                        ; implicit-def: $sgpr38_sgpr39
	s_wait_kmcnt 0x0
	s_or_b64 s[36:37], s[24:25], s[34:35]
	s_delay_alu instid0(SALU_CYCLE_1)
	s_mov_b32 s31, s37
	s_mov_b32 s37, -1
	s_wait_alu 0xfffe
	s_cmp_lg_u64 s[30:31], 0
	s_cbranch_scc0 .LBB0_9
; %bb.8:                                ;   in Loop: Header=BB0_7 Depth=1
	s_cvt_f32_u32 s31, s34
	s_cvt_f32_u32 s33, s35
	s_sub_nc_u64 s[40:41], 0, s[34:35]
	s_mov_b32 s37, 0
	s_mov_b32 s45, s30
	s_wait_alu 0xfffe
	s_fmamk_f32 s31, s33, 0x4f800000, s31
	s_wait_alu 0xfffe
	s_delay_alu instid0(SALU_CYCLE_2) | instskip(NEXT) | instid1(TRANS32_DEP_1)
	v_s_rcp_f32 s31, s31
	s_mul_f32 s31, s31, 0x5f7ffffc
	s_wait_alu 0xfffe
	s_delay_alu instid0(SALU_CYCLE_2) | instskip(NEXT) | instid1(SALU_CYCLE_3)
	s_mul_f32 s33, s31, 0x2f800000
	s_trunc_f32 s33, s33
	s_delay_alu instid0(SALU_CYCLE_3) | instskip(SKIP_2) | instid1(SALU_CYCLE_1)
	s_fmamk_f32 s31, s33, 0xcf800000, s31
	s_cvt_u32_f32 s39, s33
	s_wait_alu 0xfffe
	s_cvt_u32_f32 s38, s31
	s_wait_alu 0xfffe
	s_delay_alu instid0(SALU_CYCLE_2)
	s_mul_u64 s[42:43], s[40:41], s[38:39]
	s_wait_alu 0xfffe
	s_mul_hi_u32 s47, s38, s43
	s_mul_i32 s46, s38, s43
	s_mul_hi_u32 s36, s38, s42
	s_mul_i32 s33, s39, s42
	s_add_nc_u64 s[46:47], s[36:37], s[46:47]
	s_mul_hi_u32 s31, s39, s42
	s_mul_hi_u32 s48, s39, s43
	s_add_co_u32 s33, s46, s33
	s_wait_alu 0xfffe
	s_add_co_ci_u32 s44, s47, s31
	s_mul_i32 s42, s39, s43
	s_add_co_ci_u32 s43, s48, 0
	s_wait_alu 0xfffe
	s_add_nc_u64 s[42:43], s[44:45], s[42:43]
	s_wait_alu 0xfffe
	v_add_co_u32 v1, s31, s38, s42
	s_delay_alu instid0(VALU_DEP_1) | instskip(SKIP_1) | instid1(VALU_DEP_1)
	s_cmp_lg_u32 s31, 0
	s_add_co_ci_u32 s39, s39, s43
	v_readfirstlane_b32 s38, v1
	s_mov_b32 s43, s30
	s_wait_alu 0xfffe
	s_delay_alu instid0(VALU_DEP_1)
	s_mul_u64 s[40:41], s[40:41], s[38:39]
	s_wait_alu 0xfffe
	s_mul_hi_u32 s45, s38, s41
	s_mul_i32 s44, s38, s41
	s_mul_hi_u32 s36, s38, s40
	s_mul_i32 s33, s39, s40
	s_add_nc_u64 s[44:45], s[36:37], s[44:45]
	s_mul_hi_u32 s31, s39, s40
	s_mul_hi_u32 s38, s39, s41
	s_add_co_u32 s33, s44, s33
	s_wait_alu 0xfffe
	s_add_co_ci_u32 s42, s45, s31
	s_mul_i32 s40, s39, s41
	s_add_co_ci_u32 s41, s38, 0
	s_wait_alu 0xfffe
	s_add_nc_u64 s[40:41], s[42:43], s[40:41]
	s_wait_alu 0xfffe
	v_add_co_u32 v1, s31, v1, s40
	s_delay_alu instid0(VALU_DEP_1) | instskip(SKIP_1) | instid1(VALU_DEP_1)
	s_cmp_lg_u32 s31, 0
	s_add_co_ci_u32 s31, s39, s41
	v_readfirstlane_b32 s33, v1
	s_wait_alu 0xfffe
	s_mul_hi_u32 s39, s24, s31
	s_mul_i32 s38, s24, s31
	s_mul_hi_u32 s41, s25, s31
	s_mul_i32 s40, s25, s31
	;; [unrolled: 2-line block ×3, first 2 shown]
	s_wait_alu 0xfffe
	s_add_nc_u64 s[38:39], s[36:37], s[38:39]
	s_mul_hi_u32 s33, s25, s33
	s_wait_alu 0xfffe
	s_add_co_u32 s31, s38, s31
	s_add_co_ci_u32 s42, s39, s33
	s_add_co_ci_u32 s41, s41, 0
	s_wait_alu 0xfffe
	s_add_nc_u64 s[38:39], s[42:43], s[40:41]
	s_wait_alu 0xfffe
	s_mul_u64 s[40:41], s[34:35], s[38:39]
	s_add_nc_u64 s[42:43], s[38:39], 1
	s_wait_alu 0xfffe
	v_sub_co_u32 v1, s31, s24, s40
	s_sub_co_i32 s33, s25, s41
	s_cmp_lg_u32 s31, 0
	s_add_nc_u64 s[44:45], s[38:39], 2
	s_delay_alu instid0(VALU_DEP_1) | instskip(SKIP_2) | instid1(VALU_DEP_1)
	v_sub_co_u32 v2, s36, v1, s34
	s_sub_co_ci_u32 s33, s33, s35
	s_cmp_lg_u32 s36, 0
	v_readfirstlane_b32 s36, v2
	s_sub_co_ci_u32 s33, s33, 0
	s_delay_alu instid0(SALU_CYCLE_1) | instskip(SKIP_1) | instid1(VALU_DEP_1)
	s_cmp_ge_u32 s33, s35
	s_cselect_b32 s40, -1, 0
	s_cmp_ge_u32 s36, s34
	s_cselect_b32 s36, -1, 0
	s_cmp_eq_u32 s33, s35
	s_wait_alu 0xfffe
	s_cselect_b32 s33, s36, s40
	s_delay_alu instid0(SALU_CYCLE_1)
	s_cmp_lg_u32 s33, 0
	s_cselect_b32 s33, s44, s42
	s_cselect_b32 s36, s45, s43
	s_cmp_lg_u32 s31, 0
	v_readfirstlane_b32 s31, v1
	s_sub_co_ci_u32 s40, s25, s41
	s_wait_alu 0xfffe
	s_cmp_ge_u32 s40, s35
	s_cselect_b32 s41, -1, 0
	s_cmp_ge_u32 s31, s34
	s_cselect_b32 s31, -1, 0
	s_cmp_eq_u32 s40, s35
	s_wait_alu 0xfffe
	s_cselect_b32 s31, s31, s41
	s_wait_alu 0xfffe
	s_cmp_lg_u32 s31, 0
	s_cselect_b32 s39, s36, s39
	s_cselect_b32 s38, s33, s38
.LBB0_9:                                ;   in Loop: Header=BB0_7 Depth=1
	s_and_not1_b32 vcc_lo, exec_lo, s37
	s_wait_alu 0xfffe
	s_cbranch_vccnz .LBB0_11
; %bb.10:                               ;   in Loop: Header=BB0_7 Depth=1
	v_cvt_f32_u32_e32 v1, s34
	s_sub_co_i32 s33, 0, s34
	s_mov_b32 s39, s30
	s_delay_alu instid0(VALU_DEP_1) | instskip(NEXT) | instid1(TRANS32_DEP_1)
	v_rcp_iflag_f32_e32 v1, v1
	v_mul_f32_e32 v1, 0x4f7ffffe, v1
	s_delay_alu instid0(VALU_DEP_1) | instskip(NEXT) | instid1(VALU_DEP_1)
	v_cvt_u32_f32_e32 v1, v1
	v_readfirstlane_b32 s31, v1
	s_delay_alu instid0(VALU_DEP_1) | instskip(NEXT) | instid1(SALU_CYCLE_1)
	s_mul_i32 s33, s33, s31
	s_mul_hi_u32 s33, s31, s33
	s_delay_alu instid0(SALU_CYCLE_1)
	s_add_co_i32 s31, s31, s33
	s_wait_alu 0xfffe
	s_mul_hi_u32 s31, s24, s31
	s_wait_alu 0xfffe
	s_mul_i32 s33, s31, s34
	s_add_co_i32 s36, s31, 1
	s_sub_co_i32 s33, s24, s33
	s_delay_alu instid0(SALU_CYCLE_1)
	s_sub_co_i32 s37, s33, s34
	s_cmp_ge_u32 s33, s34
	s_cselect_b32 s31, s36, s31
	s_cselect_b32 s33, s37, s33
	s_wait_alu 0xfffe
	s_add_co_i32 s36, s31, 1
	s_cmp_ge_u32 s33, s34
	s_cselect_b32 s38, s36, s31
.LBB0_11:                               ;   in Loop: Header=BB0_7 Depth=1
	s_load_b64 s[36:37], s[26:27], 0x0
	s_add_nc_u64 s[28:29], s[28:29], 1
	s_mul_u64 s[22:23], s[34:35], s[22:23]
	s_wait_alu 0xfffe
	v_cmp_ge_u64_e64 s31, s[28:29], s[6:7]
	s_mul_u64 s[34:35], s[38:39], s[34:35]
	s_add_nc_u64 s[26:27], s[26:27], 8
	s_wait_alu 0xfffe
	s_sub_nc_u64 s[24:25], s[24:25], s[34:35]
	s_add_nc_u64 s[8:9], s[8:9], 8
	s_and_b32 vcc_lo, exec_lo, s31
	s_wait_kmcnt 0x0
	s_wait_alu 0xfffe
	s_mul_u64 s[24:25], s[36:37], s[24:25]
	s_wait_alu 0xfffe
	s_add_nc_u64 s[20:21], s[24:25], s[20:21]
	s_cbranch_vccnz .LBB0_13
; %bb.12:                               ;   in Loop: Header=BB0_7 Depth=1
	s_mov_b64 s[24:25], s[38:39]
	s_branch .LBB0_7
.LBB0_13:
	v_cmp_lt_u64_e64 s8, s[18:19], s[22:23]
	s_mov_b64 s[24:25], 0
	s_delay_alu instid0(VALU_DEP_1)
	s_and_b32 vcc_lo, exec_lo, s8
	s_wait_alu 0xfffe
	s_cbranch_vccnz .LBB0_15
; %bb.14:
	v_cvt_f32_u32_e32 v1, s22
	s_sub_co_i32 s9, 0, s22
	s_mov_b32 s25, 0
	s_delay_alu instid0(VALU_DEP_1) | instskip(NEXT) | instid1(TRANS32_DEP_1)
	v_rcp_iflag_f32_e32 v1, v1
	v_mul_f32_e32 v1, 0x4f7ffffe, v1
	s_delay_alu instid0(VALU_DEP_1) | instskip(NEXT) | instid1(VALU_DEP_1)
	v_cvt_u32_f32_e32 v1, v1
	v_readfirstlane_b32 s8, v1
	s_delay_alu instid0(VALU_DEP_1) | instskip(NEXT) | instid1(SALU_CYCLE_1)
	s_mul_i32 s9, s9, s8
	s_mul_hi_u32 s9, s8, s9
	s_delay_alu instid0(SALU_CYCLE_1) | instskip(NEXT) | instid1(SALU_CYCLE_1)
	s_add_co_i32 s8, s8, s9
	s_mul_hi_u32 s8, s18, s8
	s_delay_alu instid0(SALU_CYCLE_1) | instskip(NEXT) | instid1(SALU_CYCLE_1)
	s_mul_i32 s9, s8, s22
	s_sub_co_i32 s9, s18, s9
	s_add_co_i32 s18, s8, 1
	s_sub_co_i32 s19, s9, s22
	s_cmp_ge_u32 s9, s22
	s_wait_alu 0xfffe
	s_cselect_b32 s8, s18, s8
	s_cselect_b32 s9, s19, s9
	s_add_co_i32 s18, s8, 1
	s_cmp_ge_u32 s9, s22
	s_wait_alu 0xfffe
	s_cselect_b32 s24, s18, s8
.LBB0_15:
	v_mul_hi_u32 v56, 0x1c71c71d, v0
	s_lshl_b64 s[6:7], s[6:7], 3
	s_add_nc_u64 s[8:9], s[14:15], 9
	s_wait_alu 0xfffe
	s_add_nc_u64 s[6:7], s[10:11], s[6:7]
	v_cmp_le_u64_e64 s8, s[8:9], s[16:17]
	s_load_b64 s[6:7], s[6:7], 0x0
	s_delay_alu instid0(VALU_DEP_2) | instskip(SKIP_2) | instid1(VALU_DEP_3)
	v_mul_u32_u24_e32 v1, 9, v56
	v_or_b32_e32 v2, 32, v56
	v_add_nc_u32_e32 v3, 0x70, v56
	v_sub_nc_u32_e32 v4, v0, v1
	v_or_b32_e32 v1, 64, v56
	scratch_store_b32 off, v3, off offset:48 ; 4-byte Folded Spill
	v_or_b32_e32 v3, 0x80, v56
	scratch_store_b32 off, v1, off offset:60 ; 4-byte Folded Spill
	v_add_nc_u32_e32 v1, 0x50, v56
	scratch_store_b32 off, v3, off offset:44 ; 4-byte Folded Spill
	v_add_nc_u32_e32 v3, 0x90, v56
	scratch_store_b32 off, v1, off offset:56 ; 4-byte Folded Spill
	v_or_b32_e32 v1, 0x60, v56
	scratch_store_b32 off, v2, off offset:64 ; 4-byte Folded Spill
	v_add_nc_u32_e32 v2, 48, v56
	s_wait_kmcnt 0x0
	s_mul_u64 s[6:7], s[6:7], s[24:25]
	scratch_store_b32 off, v1, off offset:52 ; 4-byte Folded Spill
	v_add_co_u32 v1, s9, s14, v4
	scratch_store_b32 off, v2, off offset:68 ; 4-byte Folded Spill
	s_wait_alu 0xf1ff
	v_add_co_ci_u32_e64 v2, null, s15, 0, s9
	s_clause 0x1
	scratch_store_b32 off, v3, off offset:40
	scratch_store_b32 off, v4, off
	v_mul_lo_u32 v3, 0xd00, v4
	s_wait_alu 0xfffe
	s_add_nc_u64 s[6:7], s[6:7], s[20:21]
	v_cmp_gt_u64_e32 vcc_lo, s[16:17], v[1:2]
	v_or_b32_e32 v1, 0xa0, v56
	scratch_store_b32 off, v1, off offset:36 ; 4-byte Folded Spill
	v_add_nc_u32_e32 v1, 0xb0, v56
	s_or_b32 s33, s8, vcc_lo
	scratch_store_b32 off, v1, off offset:32 ; 4-byte Folded Spill
	v_or_b32_e32 v1, 0xc0, v56
	s_clause 0x1
	scratch_store_b32 off, v3, off offset:4
	scratch_store_b32 off, v1, off offset:28
	s_and_saveexec_b32 s8, s33
	s_cbranch_execz .LBB0_17
; %bb.16:
	scratch_load_b32 v9, off, off           ; 4-byte Folded Reload
	v_mad_co_u64_u32 v[3:4], null, s0, v56, 0
	v_or_b32_e32 v14, 32, v56
	s_wait_alu 0xfffe
	s_lshl_b64 s[10:11], s[6:7], 4
	v_or_b32_e32 v23, 0x60, v56
	s_add_nc_u64 s[10:11], s[4:5], s[10:11]
	v_or_b32_e32 v32, 0x80, v56
	v_mad_co_u64_u32 v[7:8], null, s0, v14, 0
	s_delay_alu instid0(VALU_DEP_3) | instskip(NEXT) | instid1(VALU_DEP_3)
	v_mad_co_u64_u32 v[25:26], null, s0, v23, 0
	v_mad_co_u64_u32 v[33:34], null, s0, v32, 0
	v_add_nc_u32_e32 v46, 0xb0, v56
	v_or_b32_e32 v45, 0xc0, v56
	v_add_nc_u32_e32 v29, 0x70, v56
	v_add_nc_u32_e32 v41, 0x90, v56
	v_lshlrev_b32_e32 v53, 4, v56
	v_mad_co_u64_u32 v[39:40], null, s0, v46, 0
	s_delay_alu instid0(VALU_DEP_4) | instskip(SKIP_2) | instid1(VALU_DEP_3)
	v_mad_co_u64_u32 v[27:28], null, s0, v29, 0
	v_mov_b32_e32 v31, v34
	v_mad_co_u64_u32 v[35:36], null, s0, v41, 0
	v_mov_b32_e32 v22, v28
	s_wait_loadcnt 0x0
	v_mad_co_u64_u32 v[1:2], null, s2, v9, 0
	s_delay_alu instid0(VALU_DEP_1) | instskip(NEXT) | instid1(VALU_DEP_1)
	v_mad_co_u64_u32 v[9:10], null, s3, v9, v[2:3]
	v_dual_mov_b32 v2, v9 :: v_dual_add_nc_u32 v15, 48, v56
	s_delay_alu instid0(VALU_DEP_1) | instskip(SKIP_1) | instid1(VALU_DEP_3)
	v_mad_co_u64_u32 v[10:11], null, s0, v15, 0
	v_add_nc_u32_e32 v16, 16, v56
	v_lshlrev_b64_e32 v[1:2], 4, v[1:2]
	s_delay_alu instid0(VALU_DEP_3) | instskip(NEXT) | instid1(VALU_DEP_3)
	v_mov_b32_e32 v9, v11
	v_mad_co_u64_u32 v[5:6], null, s0, v16, 0
	s_delay_alu instid0(VALU_DEP_3) | instskip(SKIP_1) | instid1(VALU_DEP_4)
	v_add_co_u32 v49, vcc_lo, s10, v1
	s_wait_alu 0xfffd
	v_add_co_ci_u32_e32 v50, vcc_lo, s11, v2, vcc_lo
	v_mad_co_u64_u32 v[1:2], null, s1, v15, v[9:10]
	s_delay_alu instid0(VALU_DEP_4) | instskip(SKIP_1) | instid1(VALU_DEP_1)
	v_mad_co_u64_u32 v[12:13], null, s1, v56, v[4:5]
	v_or_b32_e32 v15, 64, v56
	v_mad_co_u64_u32 v[17:18], null, s0, v15, 0
	s_delay_alu instid0(VALU_DEP_3) | instskip(SKIP_2) | instid1(VALU_DEP_2)
	v_mov_b32_e32 v4, v12
	v_mad_co_u64_u32 v[11:12], null, s1, v16, v[6:7]
	v_mad_co_u64_u32 v[12:13], null, s1, v14, v[8:9]
	v_dual_mov_b32 v6, v11 :: v_dual_mov_b32 v11, v1
	v_mov_b32_e32 v1, v18
	v_lshlrev_b64_e32 v[3:4], 4, v[3:4]
	s_delay_alu instid0(VALU_DEP_4) | instskip(SKIP_1) | instid1(VALU_DEP_3)
	v_mov_b32_e32 v8, v12
	v_add_nc_u32_e32 v12, 0x50, v56
	v_add_co_u32 v2, vcc_lo, v49, v3
	s_wait_alu 0xfffd
	s_delay_alu instid0(VALU_DEP_4) | instskip(SKIP_4) | instid1(VALU_DEP_4)
	v_add_co_ci_u32_e32 v3, vcc_lo, v50, v4, vcc_lo
	v_lshlrev_b64_e32 v[4:5], 4, v[5:6]
	v_mad_co_u64_u32 v[19:20], null, s0, v12, 0
	v_mad_co_u64_u32 v[15:16], null, s1, v15, v[1:2]
	v_lshlrev_b64_e32 v[6:7], 4, v[7:8]
	v_add_co_u32 v8, vcc_lo, v49, v4
	s_wait_alu 0xfffd
	v_add_co_ci_u32_e32 v9, vcc_lo, v50, v5, vcc_lo
	v_lshlrev_b64_e32 v[4:5], 4, v[10:11]
	s_delay_alu instid0(VALU_DEP_4)
	v_add_co_u32 v10, vcc_lo, v49, v6
	v_mov_b32_e32 v6, v20
	v_mov_b32_e32 v18, v15
	s_wait_alu 0xfffd
	v_add_co_ci_u32_e32 v11, vcc_lo, v50, v7, vcc_lo
	v_add_co_u32 v13, vcc_lo, v49, v4
	v_mad_co_u64_u32 v[20:21], null, s1, v12, v[6:7]
	v_mov_b32_e32 v21, v26
	v_lshlrev_b64_e32 v[17:18], 4, v[17:18]
	s_wait_alu 0xfffd
	v_add_co_ci_u32_e32 v14, vcc_lo, v50, v5, vcc_lo
	s_clause 0x1
	global_load_b128 v[1:4], v[2:3], off
	global_load_b128 v[5:8], v[8:9], off
	v_mad_co_u64_u32 v[23:24], null, s1, v23, v[21:22]
	v_lshlrev_b64_e32 v[19:20], 4, v[19:20]
	v_add_co_u32 v17, vcc_lo, v49, v17
	s_wait_alu 0xfffd
	v_add_co_ci_u32_e32 v18, vcc_lo, v50, v18, vcc_lo
	s_clause 0x1
	global_load_b128 v[9:12], v[10:11], off
	global_load_b128 v[13:16], v[13:14], off
	v_mad_co_u64_u32 v[21:22], null, s1, v29, v[22:23]
	v_add_co_u32 v29, vcc_lo, v49, v19
	s_wait_alu 0xfffd
	v_add_co_ci_u32_e32 v30, vcc_lo, v50, v20, vcc_lo
	v_mov_b32_e32 v26, v23
	s_delay_alu instid0(VALU_DEP_4)
	v_mov_b32_e32 v28, v21
	s_clause 0x1
	global_load_b128 v[17:20], v[17:18], off
	global_load_b128 v[21:24], v[29:30], off
	v_mad_co_u64_u32 v[29:30], null, s1, v32, v[31:32]
	v_or_b32_e32 v32, 0xa0, v56
	v_lshlrev_b64_e32 v[25:26], 4, v[25:26]
	v_lshlrev_b64_e32 v[27:28], 4, v[27:28]
	s_delay_alu instid0(VALU_DEP_3) | instskip(NEXT) | instid1(VALU_DEP_3)
	v_mad_co_u64_u32 v[37:38], null, s0, v32, 0
	v_add_co_u32 v25, vcc_lo, v49, v25
	s_wait_alu 0xfffd
	s_delay_alu instid0(VALU_DEP_4) | instskip(NEXT) | instid1(VALU_DEP_4)
	v_add_co_ci_u32_e32 v26, vcc_lo, v50, v26, vcc_lo
	v_add_co_u32 v30, vcc_lo, v49, v27
	s_wait_alu 0xfffd
	v_add_co_ci_u32_e32 v31, vcc_lo, v50, v28, vcc_lo
	v_dual_mov_b32 v27, v36 :: v_dual_mov_b32 v28, v38
	v_mov_b32_e32 v34, v29
	s_delay_alu instid0(VALU_DEP_2) | instskip(SKIP_2) | instid1(VALU_DEP_4)
	v_mad_co_u64_u32 v[41:42], null, s1, v41, v[27:28]
	v_mad_co_u64_u32 v[42:43], null, s1, v32, v[28:29]
	v_mad_co_u64_u32 v[43:44], null, s0, v45, 0
	v_lshlrev_b64_e32 v[33:34], 4, v[33:34]
	s_clause 0x1
	global_load_b128 v[25:28], v[25:26], off
	global_load_b128 v[29:32], v[30:31], off
	v_mov_b32_e32 v36, v41
	v_mad_co_u64_u32 v[40:41], null, s1, v46, v[40:41]
	v_dual_mov_b32 v38, v42 :: v_dual_mov_b32 v41, v44
	s_delay_alu instid0(VALU_DEP_3) | instskip(SKIP_1) | instid1(VALU_DEP_3)
	v_lshlrev_b64_e32 v[35:36], 4, v[35:36]
	v_add_co_u32 v33, vcc_lo, v49, v33
	v_lshlrev_b64_e32 v[37:38], 4, v[37:38]
	s_delay_alu instid0(VALU_DEP_4)
	v_mad_co_u64_u32 v[41:42], null, s1, v45, v[41:42]
	s_wait_alu 0xfffd
	v_add_co_ci_u32_e32 v34, vcc_lo, v50, v34, vcc_lo
	v_add_co_u32 v45, vcc_lo, v49, v35
	s_wait_alu 0xfffd
	v_add_co_ci_u32_e32 v46, vcc_lo, v50, v36, vcc_lo
	s_delay_alu instid0(VALU_DEP_4)
	v_mov_b32_e32 v44, v41
	v_lshlrev_b64_e32 v[35:36], 4, v[39:40]
	v_add_co_u32 v41, vcc_lo, v49, v37
	s_wait_alu 0xfffd
	v_add_co_ci_u32_e32 v42, vcc_lo, v50, v38, vcc_lo
	v_lshlrev_b64_e32 v[37:38], 4, v[43:44]
	s_delay_alu instid0(VALU_DEP_4) | instskip(SKIP_2) | instid1(VALU_DEP_3)
	v_add_co_u32 v47, vcc_lo, v49, v35
	s_wait_alu 0xfffd
	v_add_co_ci_u32_e32 v48, vcc_lo, v50, v36, vcc_lo
	v_add_co_u32 v49, vcc_lo, v49, v37
	s_wait_alu 0xfffd
	v_add_co_ci_u32_e32 v50, vcc_lo, v50, v38, vcc_lo
	s_clause 0x4
	global_load_b128 v[33:36], v[33:34], off
	global_load_b128 v[37:40], v[45:46], off
	;; [unrolled: 1-line block ×5, first 2 shown]
	scratch_load_b32 v54, off, off offset:4 ; 4-byte Folded Reload
	s_wait_loadcnt 0x0
	v_add3_u32 v53, 0, v54, v53
	ds_store_b128 v53, v[1:4]
	ds_store_b128 v53, v[5:8] offset:256
	ds_store_b128 v53, v[9:12] offset:512
	;; [unrolled: 1-line block ×12, first 2 shown]
.LBB0_17:
	s_wait_alu 0xfffe
	s_or_b32 exec_lo, exec_lo, s8
	s_mov_b32 s8, 0
	s_mov_b32 s10, 0x71c4fc00
	s_movk_i32 s11, 0x7c
	s_wait_alu 0xfffe
	s_mov_b32 s9, s8
	s_mov_b32 s21, s8
	s_wait_alu 0xfffe
	s_add_nc_u64 s[10:11], s[8:9], s[10:11]
	v_lshrrev_b32_e32 v1, 4, v0
	s_wait_alu 0xfffe
	s_add_co_i32 s11, s11, 0x1c71c6a0
	v_and_b32_e32 v65, 15, v0
	s_wait_alu 0xfffe
	s_mul_u64 s[16:17], s[10:11], -9
	global_wb scope:SCOPE_SE
	s_wait_storecnt_dscnt 0x0
	s_wait_alu 0xfffe
	s_mul_hi_u32 s19, s10, s17
	s_mul_i32 s18, s10, s17
	s_mul_hi_u32 s20, s10, s16
	s_mul_hi_u32 s9, s11, s16
	s_mul_i32 s16, s11, s16
	s_wait_alu 0xfffe
	s_add_nc_u64 s[18:19], s[20:21], s[18:19]
	s_mul_hi_u32 s20, s11, s17
	s_wait_alu 0xfffe
	s_add_co_u32 s16, s18, s16
	s_add_co_ci_u32 s16, s19, s9
	s_add_co_ci_u32 s19, s20, 0
	s_mul_i32 s18, s11, s17
	s_mov_b32 s17, s8
	s_barrier_signal -1
	s_wait_alu 0xfffe
	s_add_nc_u64 s[8:9], s[16:17], s[18:19]
	s_barrier_wait -1
	s_wait_alu 0xfffe
	v_add_co_u32 v3, s8, s10, s8
	s_delay_alu instid0(VALU_DEP_1) | instskip(SKIP_4) | instid1(VALU_DEP_2)
	s_cmp_lg_u32 s8, 0
	v_add_co_u32 v64, s8, s14, v1
	s_wait_alu 0xf1ff
	v_add_co_ci_u32_e64 v5, null, s15, 0, s8
	s_add_co_ci_u32 s8, s11, s9
	v_mul_hi_u32 v6, v64, v3
	s_wait_alu 0xfffe
	v_mad_co_u64_u32 v[1:2], null, v64, s8, 0
	v_mad_co_u64_u32 v[3:4], null, v5, v3, 0
	global_inv scope:SCOPE_SE
	s_mov_b32 s22, 0x4267c47c
	s_mov_b32 s16, 0xe00740e9
	;; [unrolled: 1-line block ×3, first 2 shown]
	v_add_co_u32 v6, vcc_lo, v6, v1
	s_wait_alu 0xfffd
	v_add_co_ci_u32_e32 v7, vcc_lo, 0, v2, vcc_lo
	v_mad_co_u64_u32 v[1:2], null, v5, s8, 0
	s_delay_alu instid0(VALU_DEP_3) | instskip(SKIP_1) | instid1(VALU_DEP_3)
	v_add_co_u32 v3, vcc_lo, v6, v3
	s_wait_alu 0xfffd
	v_add_co_ci_u32_e32 v3, vcc_lo, v7, v4, vcc_lo
	s_mov_b32 s14, 0x1ea71119
	s_mov_b32 s18, 0x66966769
	s_wait_alu 0xfffd
	s_delay_alu instid0(VALU_DEP_3) | instskip(SKIP_3) | instid1(VALU_DEP_2)
	v_add_co_ci_u32_e32 v2, vcc_lo, 0, v2, vcc_lo
	v_add_co_u32 v1, vcc_lo, v3, v1
	s_mov_b32 s30, 0xebaa3ed8
	s_wait_alu 0xfffd
	v_add_co_ci_u32_e32 v3, vcc_lo, 0, v2, vcc_lo
	s_delay_alu instid0(VALU_DEP_2)
	v_mad_co_u64_u32 v[1:2], null, v1, 9, 0
	s_mov_b32 s28, 0x2ef20147
	s_mov_b32 s24, 0x24c2f84
	;; [unrolled: 1-line block ×6, first 2 shown]
	s_delay_alu instid0(VALU_DEP_1)
	v_mad_co_u64_u32 v[2:3], null, v3, 9, v[2:3]
	v_sub_co_u32 v1, vcc_lo, v64, v1
	s_mov_b32 s23, 0xbfddbe06
	s_mov_b32 s17, 0x3fec55a7
	;; [unrolled: 1-line block ×4, first 2 shown]
	s_wait_alu 0xfffd
	s_delay_alu instid0(VALU_DEP_2) | instskip(SKIP_3) | instid1(VALU_DEP_2)
	v_sub_co_ci_u32_e32 v2, vcc_lo, v5, v2, vcc_lo
	v_sub_co_u32 v3, vcc_lo, v1, 9
	s_mov_b32 s19, 0xbfefc445
	s_wait_alu 0xfffd
	v_subrev_co_ci_u32_e32 v4, vcc_lo, 0, v2, vcc_lo
	s_delay_alu instid0(VALU_DEP_2)
	v_cmp_lt_u32_e32 vcc_lo, 8, v3
	s_mov_b32 s31, 0x3fbedb7d
	s_mov_b32 s29, 0xbfedeba7
	;; [unrolled: 1-line block ×4, first 2 shown]
	s_wait_alu 0xfffd
	v_cndmask_b32_e64 v5, 0, -1, vcc_lo
	v_cmp_lt_u32_e32 vcc_lo, 8, v1
	s_mov_b32 s35, 0xbfd6b1d8
	s_mov_b32 s39, 0xbfe7f3cc
	;; [unrolled: 1-line block ×4, first 2 shown]
	s_wait_alu 0xfffd
	v_cndmask_b32_e64 v6, 0, -1, vcc_lo
	v_cmp_eq_u32_e32 vcc_lo, 0, v4
	s_mov_b32 s11, 0x3fea55e2
	s_mov_b32 s27, 0x3fefc445
	;; [unrolled: 1-line block ×4, first 2 shown]
	s_wait_alu 0xfffd
	v_dual_cndmask_b32 v4, -1, v5 :: v_dual_add_nc_u32 v5, -9, v3
	v_cmp_eq_u32_e32 vcc_lo, 0, v2
	s_mov_b32 s37, 0x3fcea1e5
	s_wait_alu 0xfffe
	s_mov_b32 s8, s22
	s_mov_b32 s10, s20
	;; [unrolled: 1-line block ×3, first 2 shown]
	s_wait_alu 0xfffd
	v_cndmask_b32_e32 v2, -1, v6, vcc_lo
	v_cmp_ne_u32_e32 vcc_lo, 0, v4
	s_mov_b32 s40, s28
	s_mov_b32 s42, s24
	;; [unrolled: 1-line block ×3, first 2 shown]
	s_wait_alu 0xfffd
	v_cndmask_b32_e32 v3, v3, v5, vcc_lo
	v_cmp_ne_u32_e32 vcc_lo, 0, v2
	s_wait_alu 0xfffd
	s_delay_alu instid0(VALU_DEP_2) | instskip(SKIP_1) | instid1(VALU_DEP_2)
	v_cndmask_b32_e32 v1, v1, v3, vcc_lo
	v_cmp_gt_u32_e32 vcc_lo, 13, v65
	v_mul_u32_u24_e32 v1, 0xd0, v1
	s_delay_alu instid0(VALU_DEP_1) | instskip(SKIP_1) | instid1(VALU_DEP_2)
	v_lshlrev_b32_e32 v0, 4, v1
	v_lshlrev_b32_e32 v1, 4, v65
	v_add_nc_u32_e32 v57, 0, v0
	s_delay_alu instid0(VALU_DEP_2) | instskip(NEXT) | instid1(VALU_DEP_2)
	v_add3_u32 v59, 0, v1, v0
	v_add_nc_u32_e32 v2, v57, v1
	scratch_store_b32 off, v2, off offset:8 ; 4-byte Folded Spill
	ds_load_b128 v[0:3], v2
	ds_load_b128 v[12:15], v59 offset:256
	ds_load_b128 v[32:35], v59 offset:512
	;; [unrolled: 1-line block ×3, first 2 shown]
	s_wait_dscnt 0x2
	v_add_f64_e32 v[6:7], v[2:3], v[14:15]
	v_add_f64_e32 v[4:5], v[0:1], v[12:13]
	s_wait_dscnt 0x1
	s_delay_alu instid0(VALU_DEP_2) | instskip(NEXT) | instid1(VALU_DEP_2)
	v_add_f64_e32 v[38:39], v[6:7], v[34:35]
	v_add_f64_e32 v[36:37], v[4:5], v[32:33]
	ds_load_b128 v[40:43], v59 offset:1024
	ds_load_b128 v[24:27], v59 offset:1280
	;; [unrolled: 1-line block ×9, first 2 shown]
	global_wb scope:SCOPE_SE
	s_wait_storecnt_dscnt 0x0
	s_barrier_signal -1
	s_barrier_wait -1
	global_inv scope:SCOPE_SE
	v_add_f64_e32 v[68:69], v[26:27], v[6:7]
	v_add_f64_e64 v[82:83], v[26:27], -v[6:7]
	v_add_f64_e64 v[70:71], v[34:35], -v[10:11]
	v_add_f64_e32 v[72:73], v[34:35], v[10:11]
	v_add_f64_e64 v[74:75], v[30:31], -v[18:19]
	v_add_f64_e32 v[76:77], v[30:31], v[18:19]
	v_add_f64_e64 v[96:97], v[14:15], -v[54:55]
	v_add_f64_e32 v[98:99], v[14:15], v[54:55]
	v_add_f64_e32 v[100:101], v[12:13], v[52:53]
	v_add_f64_e64 v[102:103], v[12:13], -v[52:53]
	v_add_f64_e32 v[88:89], v[32:33], v[8:9]
	v_add_f64_e64 v[90:91], v[32:33], -v[8:9]
	v_add_f64_e64 v[78:79], v[42:43], -v[22:23]
	v_add_f64_e32 v[80:81], v[42:43], v[22:23]
	v_add_f64_e32 v[44:45], v[48:49], v[62:63]
	v_add_f64_e64 v[84:85], v[48:49], -v[62:63]
	v_add_f64_e32 v[34:35], v[46:47], v[60:61]
	v_add_f64_e32 v[92:93], v[28:29], v[16:17]
	;; [unrolled: 3-line block ×3, first 2 shown]
	v_add_f64_e32 v[50:51], v[36:37], v[28:29]
	v_add_f64_e32 v[38:39], v[24:25], v[4:5]
	v_add_f64_e64 v[36:37], v[24:25], -v[4:5]
	v_add_f64_e64 v[30:31], v[46:47], -v[60:61]
	v_mul_f64_e32 v[14:15], s[38:39], v[68:69]
	v_mul_f64_e32 v[128:129], s[26:27], v[82:83]
	;; [unrolled: 1-line block ×20, first 2 shown]
	s_wait_alu 0xfffe
	v_mul_f64_e32 v[150:151], s[42:43], v[70:71]
	v_add_f64_e32 v[66:67], v[66:67], v[42:43]
	v_add_f64_e32 v[50:51], v[50:51], v[40:41]
	v_mul_f64_e32 v[152:153], s[38:39], v[72:73]
	v_mul_f64_e32 v[178:179], s[26:27], v[70:71]
	;; [unrolled: 1-line block ×17, first 2 shown]
	v_add_f64_e64 v[40:41], v[40:41], -v[20:21]
	v_mul_f64_e32 v[112:113], s[28:29], v[78:79]
	v_fma_f64 v[202:203], v[88:89], s[34:35], v[116:117]
	v_fma_f64 v[204:205], v[90:91], s[40:41], v[118:119]
	;; [unrolled: 1-line block ×4, first 2 shown]
	v_fma_f64 v[158:159], v[100:101], s[16:17], -v[158:159]
	v_fma_f64 v[160:161], v[102:103], s[22:23], v[160:161]
	v_fma_f64 v[216:217], v[100:101], s[14:15], v[166:167]
	v_fma_f64 v[218:219], v[102:103], s[10:11], v[168:169]
	v_fma_f64 v[166:167], v[100:101], s[14:15], -v[166:167]
	v_fma_f64 v[168:169], v[102:103], s[20:21], v[168:169]
	v_fma_f64 v[220:221], v[100:101], s[30:31], v[174:175]
	v_fma_f64 v[222:223], v[102:103], s[26:27], v[176:177]
	;; [unrolled: 4-line block ×3, first 2 shown]
	v_fma_f64 v[182:183], v[100:101], s[34:35], -v[182:183]
	v_add_f64_e32 v[26:27], v[66:67], v[26:27]
	v_add_f64_e32 v[24:25], v[50:51], v[24:25]
	v_fma_f64 v[184:185], v[102:103], s[28:29], v[184:185]
	v_fma_f64 v[228:229], v[100:101], s[38:39], v[190:191]
	;; [unrolled: 1-line block ×3, first 2 shown]
	v_fma_f64 v[190:191], v[100:101], s[38:39], -v[190:191]
	v_fma_f64 v[192:193], v[102:103], s[24:25], v[192:193]
	v_fma_f64 v[232:233], v[100:101], s[44:45], v[96:97]
	;; [unrolled: 1-line block ×3, first 2 shown]
	v_fma_f64 v[96:97], v[100:101], s[44:45], -v[96:97]
	v_fma_f64 v[98:99], v[102:103], s[46:47], v[98:99]
	v_fma_f64 v[100:101], v[88:89], s[44:45], v[134:135]
	v_fma_f64 v[102:103], v[90:91], s[36:37], v[136:137]
	v_fma_f64 v[238:239], v[88:89], s[38:39], v[150:151]
	v_fma_f64 v[240:241], v[90:91], s[24:25], v[152:153]
	v_fma_f64 v[248:249], v[88:89], s[30:31], v[178:179]
	v_fma_f64 v[250:251], v[90:91], s[18:19], v[180:181]
	v_mul_f64_e32 v[114:115], s[34:35], v[80:81]
	v_mul_f64_e32 v[124:125], s[42:43], v[78:79]
	;; [unrolled: 1-line block ×6, first 2 shown]
	v_add_f64_e32 v[212:213], v[0:1], v[212:213]
	v_add_f64_e32 v[214:215], v[2:3], v[214:215]
	;; [unrolled: 1-line block ×17, first 2 shown]
	v_fma_f64 v[46:47], v[88:89], s[14:15], -v[104:105]
	v_fma_f64 v[48:49], v[90:91], s[20:21], v[106:107]
	v_add_f64_e32 v[184:185], v[2:3], v[184:185]
	v_add_f64_e32 v[228:229], v[0:1], v[228:229]
	;; [unrolled: 1-line block ×9, first 2 shown]
	v_mul_f64_e32 v[164:165], s[30:31], v[80:81]
	v_mul_f64_e32 v[194:195], s[36:37], v[78:79]
	;; [unrolled: 1-line block ×3, first 2 shown]
	v_fma_f64 v[196:197], v[92:93], s[30:31], -v[108:109]
	v_fma_f64 v[198:199], v[94:95], s[18:19], v[110:111]
	v_fma_f64 v[206:207], v[92:93], s[44:45], v[120:121]
	;; [unrolled: 1-line block ×7, first 2 shown]
	v_mul_f64_e32 v[42:43], s[24:25], v[82:83]
	v_mul_f64_e32 v[130:131], s[30:31], v[68:69]
	;; [unrolled: 1-line block ×3, first 2 shown]
	v_add_f64_e32 v[202:203], v[202:203], v[216:217]
	v_add_f64_e32 v[204:205], v[204:205], v[218:219]
	v_mul_f64_e32 v[144:145], s[14:15], v[68:69]
	v_mul_f64_e32 v[170:171], s[36:37], v[82:83]
	v_add_f64_e32 v[100:101], v[100:101], v[220:221]
	v_add_f64_e32 v[102:103], v[102:103], v[222:223]
	v_mul_f64_e32 v[172:173], s[44:45], v[68:69]
	v_fma_f64 v[200:201], v[86:87], s[34:35], -v[112:113]
	v_add_f64_e32 v[224:225], v[238:239], v[224:225]
	v_add_f64_e32 v[226:227], v[240:241], v[226:227]
	v_fma_f64 v[210:211], v[86:87], s[38:39], v[124:125]
	v_add_f64_e32 v[26:27], v[26:27], v[62:63]
	v_add_f64_e32 v[24:25], v[24:25], v[60:61]
	v_fma_f64 v[60:61], v[92:93], s[34:35], v[138:139]
	v_fma_f64 v[62:63], v[94:95], s[28:29], v[140:141]
	v_add_f64_e32 v[46:47], v[46:47], v[158:159]
	v_add_f64_e32 v[48:49], v[48:49], v[160:161]
	v_mul_f64_e32 v[160:161], s[44:45], v[80:81]
	v_mul_f64_e32 v[80:81], s[14:15], v[80:81]
	v_add_f64_e32 v[228:229], v[248:249], v[228:229]
	v_add_f64_e32 v[230:231], v[250:251], v[230:231]
	v_fma_f64 v[236:237], v[86:87], s[16:17], v[50:51]
	v_fma_f64 v[246:247], v[86:87], s[30:31], v[162:163]
	v_fma_f64 v[50:51], v[86:87], s[16:17], -v[50:51]
	v_mul_f64_e32 v[216:217], s[8:9], v[82:83]
	v_mul_f64_e32 v[218:219], s[16:17], v[68:69]
	;; [unrolled: 1-line block ×4, first 2 shown]
	v_fma_f64 v[238:239], v[40:41], s[28:29], v[114:115]
	v_fma_f64 v[114:115], v[40:41], s[40:41], v[114:115]
	v_mul_f64_e32 v[28:29], s[46:47], v[84:85]
	v_mul_f64_e32 v[12:13], s[44:45], v[44:45]
	;; [unrolled: 1-line block ×8, first 2 shown]
	v_add_f64_e32 v[202:203], v[206:207], v[202:203]
	v_add_f64_e32 v[204:205], v[208:209], v[204:205]
	v_mul_f64_e32 v[222:223], s[34:35], v[44:45]
	v_mul_f64_e32 v[44:45], s[30:31], v[44:45]
	v_fma_f64 v[240:241], v[38:39], s[38:39], -v[42:43]
	v_fma_f64 v[248:249], v[36:37], s[24:25], v[14:15]
	v_fma_f64 v[42:43], v[38:39], s[38:39], v[42:43]
	;; [unrolled: 1-line block ×3, first 2 shown]
	v_add_f64_e32 v[224:225], v[242:243], v[224:225]
	v_add_f64_e32 v[226:227], v[244:245], v[226:227]
	;; [unrolled: 1-line block ×3, first 2 shown]
	v_fma_f64 v[26:27], v[88:89], s[14:15], v[104:105]
	v_fma_f64 v[104:105], v[88:89], s[34:35], -v[116:117]
	v_fma_f64 v[116:117], v[88:89], s[44:45], -v[134:135]
	;; [unrolled: 1-line block ×4, first 2 shown]
	v_fma_f64 v[178:179], v[88:89], s[16:17], v[70:71]
	v_fma_f64 v[70:71], v[88:89], s[16:17], -v[70:71]
	v_fma_f64 v[88:89], v[90:91], s[10:11], v[106:107]
	v_fma_f64 v[106:107], v[90:91], s[28:29], v[118:119]
	v_fma_f64 v[118:119], v[90:91], s[46:47], v[136:137]
	v_fma_f64 v[136:137], v[90:91], s[42:43], v[152:153]
	v_fma_f64 v[152:153], v[90:91], s[26:27], v[180:181]
	v_fma_f64 v[180:181], v[90:91], s[22:23], v[72:73]
	v_fma_f64 v[72:73], v[90:91], s[8:9], v[72:73]
	v_add_f64_e32 v[4:5], v[24:25], v[4:5]
	v_fma_f64 v[90:91], v[92:93], s[30:31], v[108:109]
	v_fma_f64 v[108:109], v[92:93], s[44:45], -v[120:121]
	v_fma_f64 v[120:121], v[92:93], s[34:35], -v[138:139]
	;; [unrolled: 1-line block ×4, first 2 shown]
	v_fma_f64 v[186:187], v[92:93], s[38:39], v[74:75]
	v_fma_f64 v[74:75], v[92:93], s[38:39], -v[74:75]
	v_fma_f64 v[92:93], v[94:95], s[26:27], v[110:111]
	v_fma_f64 v[110:111], v[94:95], s[46:47], v[122:123]
	;; [unrolled: 1-line block ×9, first 2 shown]
	v_fma_f64 v[112:113], v[86:87], s[38:39], -v[124:125]
	v_fma_f64 v[124:125], v[86:87], s[30:31], -v[162:163]
	;; [unrolled: 1-line block ×3, first 2 shown]
	v_fma_f64 v[194:195], v[86:87], s[14:15], v[78:79]
	v_fma_f64 v[78:79], v[86:87], s[14:15], -v[78:79]
	v_add_f64_e32 v[46:47], v[196:197], v[46:47]
	v_add_f64_e32 v[48:49], v[198:199], v[48:49]
	;; [unrolled: 1-line block ×16, first 2 shown]
	v_fma_f64 v[166:167], v[40:41], s[24:25], v[126:127]
	v_fma_f64 v[190:191], v[40:41], s[22:23], v[66:67]
	;; [unrolled: 1-line block ×10, first 2 shown]
	v_add_f64_e32 v[60:61], v[60:61], v[100:101]
	v_add_f64_e32 v[62:63], v[62:63], v[102:103]
	;; [unrolled: 1-line block ×6, first 2 shown]
	v_mul_f64_e32 v[86:87], s[10:11], v[84:85]
	v_mul_f64_e32 v[84:85], s[26:27], v[84:85]
	v_fma_f64 v[168:169], v[38:39], s[30:31], v[128:129]
	v_fma_f64 v[174:175], v[36:37], s[18:19], v[130:131]
	;; [unrolled: 1-line block ×6, first 2 shown]
	v_add_f64_e32 v[26:27], v[90:91], v[26:27]
	v_add_f64_e32 v[90:91], v[108:109], v[104:105]
	;; [unrolled: 1-line block ×10, first 2 shown]
	v_fma_f64 v[208:209], v[38:39], s[16:17], v[216:217]
	v_add_f64_e32 v[74:75], v[156:157], v[152:153]
	v_add_f64_e32 v[134:135], v[188:189], v[180:181]
	v_add_f64_e32 v[2:3], v[76:77], v[2:3]
	v_add_f64_e32 v[76:77], v[140:141], v[136:137]
	v_fma_f64 v[100:101], v[36:37], s[22:23], v[218:219]
	v_fma_f64 v[128:129], v[38:39], s[30:31], -v[128:129]
	v_fma_f64 v[142:143], v[38:39], s[14:15], -v[142:143]
	;; [unrolled: 1-line block ×4, first 2 shown]
	v_fma_f64 v[88:89], v[38:39], s[34:35], v[82:83]
	v_fma_f64 v[38:39], v[38:39], s[34:35], -v[82:83]
	v_fma_f64 v[82:83], v[36:37], s[26:27], v[130:131]
	v_fma_f64 v[92:93], v[36:37], s[20:21], v[144:145]
	;; [unrolled: 1-line block ×6, first 2 shown]
	v_add_f64_e32 v[36:37], v[200:201], v[46:47]
	v_add_f64_e32 v[46:47], v[238:239], v[48:49]
	;; [unrolled: 1-line block ×21, first 2 shown]
	v_fma_f64 v[250:251], v[34:35], s[44:45], -v[28:29]
	v_add_f64_e32 v[104:105], v[176:177], v[134:135]
	v_add_f64_e32 v[2:3], v[40:41], v[2:3]
	;; [unrolled: 1-line block ×5, first 2 shown]
	v_fma_f64 v[212:213], v[30:31], s[46:47], v[12:13]
	v_fma_f64 v[182:183], v[34:35], s[16:17], v[132:133]
	v_fma_f64 v[184:185], v[30:31], s[22:23], v[32:33]
	v_fma_f64 v[234:235], v[34:35], s[38:39], v[146:147]
	v_fma_f64 v[80:81], v[30:31], s[42:43], v[148:149]
	v_fma_f64 v[198:199], v[34:35], s[14:15], v[86:87]
	v_fma_f64 v[206:207], v[30:31], s[20:21], v[158:159]
	v_fma_f64 v[102:103], v[34:35], s[34:35], v[220:221]
	v_fma_f64 v[242:243], v[30:31], s[40:41], v[222:223]
	v_fma_f64 v[28:29], v[34:35], s[44:45], v[28:29]
	v_fma_f64 v[132:133], v[34:35], s[16:17], -v[132:133]
	v_fma_f64 v[20:21], v[34:35], s[38:39], -v[146:147]
	;; [unrolled: 1-line block ×4, first 2 shown]
	v_fma_f64 v[106:107], v[34:35], s[30:31], v[84:85]
	v_fma_f64 v[34:35], v[34:35], s[30:31], -v[84:85]
	v_fma_f64 v[84:85], v[30:31], s[18:19], v[44:45]
	v_fma_f64 v[108:109], v[30:31], s[26:27], v[44:45]
	;; [unrolled: 1-line block ×7, first 2 shown]
	v_add_f64_e32 v[12:13], v[240:241], v[36:37]
	v_add_f64_e32 v[18:19], v[248:249], v[46:47]
	;; [unrolled: 1-line block ×52, first 2 shown]
	v_mad_u32_u24 v52, 0xd0, v65, v57
	ds_store_b128 v52, v[12:15] offset:32
	ds_store_b128 v52, v[24:27] offset:48
	;; [unrolled: 1-line block ×11, first 2 shown]
	ds_store_b128 v52, v[0:3]
	ds_store_b128 v52, v[4:7] offset:16
	global_wb scope:SCOPE_SE
	s_wait_dscnt 0x0
	s_barrier_signal -1
	s_barrier_wait -1
	global_inv scope:SCOPE_SE
                                        ; implicit-def: $vgpr52_vgpr53
                                        ; implicit-def: $vgpr54_vgpr55
                                        ; implicit-def: $vgpr62_vgpr63
	scratch_store_b128 off, v[50:53], off offset:12 ; 16-byte Folded Spill
	s_and_saveexec_b32 s8, vcc_lo
	s_cbranch_execz .LBB0_19
; %bb.18:
	scratch_load_b32 v0, off, off offset:8  ; 4-byte Folded Reload
	s_wait_loadcnt 0x0
	ds_load_b128 v[0:3], v0
	ds_load_b128 v[4:7], v59 offset:208
	ds_load_b128 v[12:15], v59 offset:416
	;; [unrolled: 1-line block ×13, first 2 shown]
	s_wait_dscnt 0x0
	scratch_store_b128 off, v[52:55], off offset:12 ; 16-byte Folded Spill
	ds_load_b128 v[52:55], v59 offset:2912
	ds_load_b128 v[60:63], v59 offset:3120
.LBB0_19:
	s_wait_alu 0xfffe
	s_or_b32 exec_lo, exec_lo, s8
	v_add_nc_u32_e32 v57, -13, v65
	v_mul_lo_u32 v58, v64, 13
	s_add_co_i32 s8, 0, 0x7500
	s_delay_alu instid0(VALU_DEP_2) | instskip(SKIP_2) | instid1(VALU_DEP_1)
	v_cndmask_b32_e32 v57, v57, v65, vcc_lo
	scratch_store_b32 off, v57, off offset:72 ; 4-byte Folded Spill
	v_mul_lo_u32 v57, v57, v64
	v_and_b32_e32 v64, 63, v57
	v_lshrrev_b32_e32 v65, 2, v57
	v_lshrrev_b32_e32 v66, 8, v57
	v_add_nc_u32_e32 v57, v57, v58
	s_delay_alu instid0(VALU_DEP_4) | instskip(NEXT) | instid1(VALU_DEP_4)
	v_lshl_add_u32 v64, v64, 4, 0
	v_and_b32_e32 v65, 0x3f0, v65
	s_delay_alu instid0(VALU_DEP_4) | instskip(NEXT) | instid1(VALU_DEP_4)
	v_and_b32_e32 v66, 0x3f0, v66
	v_and_b32_e32 v67, 63, v57
	v_lshrrev_b32_e32 v68, 2, v57
	v_lshrrev_b32_e32 v69, 8, v57
	v_add_nc_u32_e32 v57, v57, v58
	s_wait_alu 0xfffe
	v_add_nc_u32_e32 v65, s8, v65
	v_lshl_add_u32 v70, v67, 4, 0
	v_and_b32_e32 v67, 0x3f0, v68
	v_and_b32_e32 v68, 0x3f0, v69
	;; [unrolled: 1-line block ×3, first 2 shown]
	v_lshrrev_b32_e32 v71, 2, v57
	v_lshrrev_b32_e32 v72, 8, v57
	v_add_nc_u32_e32 v57, v57, v58
	v_add_nc_u32_e32 v73, s8, v67
	v_lshl_add_u32 v74, v69, 4, 0
	v_and_b32_e32 v67, 0x3f0, v71
	v_and_b32_e32 v69, 0x3f0, v72
	v_add_nc_u32_e32 v72, v57, v58
	v_and_b32_e32 v71, 63, v57
	v_lshrrev_b32_e32 v75, 2, v57
	v_add_nc_u32_e32 v76, s8, v67
	v_add_nc_u32_e32 v77, s8, v69
	v_lshrrev_b32_e32 v67, 2, v72
	v_lshl_add_u32 v78, v71, 4, 0
	v_and_b32_e32 v69, 0x3f0, v75
	v_and_b32_e32 v71, 63, v72
	v_lshrrev_b32_e32 v75, 8, v72
	v_add_nc_u32_e32 v72, v72, v58
	v_and_b32_e32 v67, 0x3f0, v67
	v_add_nc_u32_e32 v79, s8, v69
	v_lshl_add_u32 v80, v71, 4, 0
	v_and_b32_e32 v69, 0x3f0, v75
	v_lshrrev_b32_e32 v71, 2, v72
	v_add_nc_u32_e32 v81, s8, v67
	v_add_nc_u32_e32 v67, v72, v58
	v_and_b32_e32 v75, 63, v72
	v_lshrrev_b32_e32 v72, 8, v72
	v_add_nc_u32_e32 v82, s8, v69
	v_and_b32_e32 v71, 0x3f0, v71
	v_lshrrev_b32_e32 v69, 2, v67
	v_lshl_add_u32 v84, v75, 4, 0
	v_and_b32_e32 v72, 0x3f0, v72
	v_and_b32_e32 v75, 63, v67
	v_add_nc_u32_e32 v85, s8, v71
	v_and_b32_e32 v69, 0x3f0, v69
	v_lshrrev_b32_e32 v71, 8, v67
	v_add_nc_u32_e32 v67, v67, v58
	v_add_nc_u32_e32 v86, s8, v72
	v_lshl_add_u32 v88, v75, 4, 0
	v_add_nc_u32_e32 v89, s8, v69
	v_and_b32_e32 v69, 0x3f0, v71
	v_add_nc_u32_e32 v71, v67, v58
	v_lshrrev_b32_e32 v72, 2, v67
	v_and_b32_e32 v75, 63, v67
	v_lshrrev_b32_e32 v67, 8, v67
	v_add_nc_u32_e32 v90, s8, v69
	v_lshrrev_b32_e32 v69, 2, v71
	v_and_b32_e32 v72, 0x3f0, v72
	v_lshl_add_u32 v92, v75, 4, 0
	v_and_b32_e32 v67, 0x3f0, v67
	v_and_b32_e32 v75, 63, v71
	;; [unrolled: 1-line block ×3, first 2 shown]
	v_add_nc_u32_e32 v93, s8, v72
	v_lshrrev_b32_e32 v72, 8, v71
	v_add_nc_u32_e32 v71, v71, v58
	v_add_nc_u32_e32 v94, s8, v67
	;; [unrolled: 1-line block ×3, first 2 shown]
	v_lshl_add_u32 v96, v75, 4, 0
	v_and_b32_e32 v67, 0x3f0, v72
	v_add_nc_u32_e32 v69, v71, v58
	v_and_b32_e32 v72, 63, v71
	v_lshrrev_b32_e32 v75, 2, v71
	v_lshrrev_b32_e32 v71, 8, v71
	v_add_nc_u32_e32 v98, s8, v67
	v_lshrrev_b32_e32 v67, 2, v69
	v_lshl_add_u32 v100, v72, 4, 0
	v_and_b32_e32 v72, 0x3f0, v75
	v_add_nc_u32_e32 v75, v69, v58
	v_and_b32_e32 v83, 63, v69
	v_and_b32_e32 v67, 0x3f0, v67
	v_lshrrev_b32_e32 v69, 8, v69
	v_and_b32_e32 v71, 0x3f0, v71
	v_add_nc_u32_e32 v101, s8, v72
	v_lshrrev_b32_e32 v72, 2, v75
	v_add_nc_u32_e32 v105, s8, v67
	v_and_b32_e32 v67, 0x3f0, v69
	v_add_nc_u32_e32 v69, v75, v58
	v_add_nc_u32_e32 v102, s8, v71
	v_and_b32_e32 v71, 63, v75
	v_lshrrev_b32_e32 v75, 8, v75
	v_and_b32_e32 v72, 0x3f0, v72
	v_add_nc_u32_e32 v106, s8, v67
	v_lshrrev_b32_e32 v67, 2, v69
	v_lshl_add_u32 v108, v71, 4, 0
	v_and_b32_e32 v71, 0x3f0, v75
	v_add_nc_u32_e32 v109, s8, v72
	v_and_b32_e32 v72, 63, v69
	v_and_b32_e32 v67, 0x3f0, v67
	v_add_nc_u32_e32 v75, v69, v58
	v_lshrrev_b32_e32 v69, 8, v69
	v_add_nc_u32_e32 v110, s8, v71
	v_lshl_add_u32 v112, v72, 4, 0
	v_add_nc_u32_e32 v113, s8, v67
	v_lshrrev_b32_e32 v67, 2, v75
	v_lshrrev_b32_e32 v71, 8, v75
	v_and_b32_e32 v72, 63, v75
	v_add_nc_u32_e32 v75, v75, v58
	v_and_b32_e32 v69, 0x3f0, v69
	v_and_b32_e32 v67, 0x3f0, v67
	;; [unrolled: 1-line block ×3, first 2 shown]
	v_lshl_add_u32 v116, v72, 4, 0
	v_add_nc_u32_e32 v58, v75, v58
	v_lshrrev_b32_e32 v72, 2, v75
	v_add_nc_u32_e32 v114, s8, v69
	v_and_b32_e32 v69, 63, v75
	v_lshrrev_b32_e32 v75, 8, v75
	v_add_nc_u32_e32 v117, s8, v67
	v_add_nc_u32_e32 v118, s8, v71
	v_and_b32_e32 v67, 0x3f0, v72
	v_lshrrev_b32_e32 v71, 2, v58
	v_lshrrev_b32_e32 v72, 8, v58
	v_lshrrev_b32_e32 v57, 8, v57
	v_lshl_add_u32 v120, v69, 4, 0
	v_and_b32_e32 v69, 0x3f0, v75
	v_and_b32_e32 v71, 0x3f0, v71
	;; [unrolled: 1-line block ×5, first 2 shown]
	v_add_nc_u32_e32 v66, s8, v66
	v_add_nc_u32_e32 v68, s8, v68
	v_lshl_add_u32 v104, v83, 4, 0
	v_add_nc_u32_e32 v121, s8, v67
	v_add_nc_u32_e32 v122, s8, v69
	;; [unrolled: 1-line block ×5, first 2 shown]
	v_lshl_add_u32 v58, v58, 4, 0
	ds_load_b128 v[128:131], v64 offset:29952
	ds_load_b128 v[132:135], v65 offset:1024
	;; [unrolled: 1-line block ×48, first 2 shown]
	global_wb scope:SCOPE_SE
	s_wait_storecnt_dscnt 0x0
	s_barrier_signal -1
	s_barrier_wait -1
	global_inv scope:SCOPE_SE
	s_and_saveexec_b32 s18, vcc_lo
	s_cbranch_execz .LBB0_21
; %bb.20:
	v_mul_f64_e32 v[57:58], v[250:251], v[254:255]
	s_mov_b32 s16, 0x667f3bcd
	s_mov_b32 s17, 0x3fe6a09e
	;; [unrolled: 1-line block ×3, first 2 shown]
	s_wait_alu 0xfffe
	s_mov_b32 s14, s16
	s_mov_b32 s8, 0xa6aea964
	;; [unrolled: 1-line block ×4, first 2 shown]
	s_wait_alu 0xfffe
	s_mov_b32 s10, s8
	s_mov_b32 s21, 0xbfed906b
	s_delay_alu instid0(VALU_DEP_1) | instskip(SKIP_2) | instid1(VALU_DEP_1)
	v_fma_f64 v[57:58], v[248:249], v[252:253], -v[57:58]
	scratch_store_b64 off, v[57:58], off offset:76 ; 8-byte Folded Spill
	v_mul_f64_e32 v[57:58], v[248:249], v[254:255]
	v_fma_f64 v[248:249], v[250:251], v[252:253], v[57:58]
	v_mul_f64_e32 v[57:58], v[242:243], v[246:247]
	s_delay_alu instid0(VALU_DEP_1) | instskip(SKIP_1) | instid1(VALU_DEP_1)
	v_fma_f64 v[250:251], v[240:241], v[244:245], -v[57:58]
	v_mul_f64_e32 v[57:58], v[240:241], v[246:247]
	v_fma_f64 v[240:241], v[242:243], v[244:245], v[57:58]
	v_mul_f64_e32 v[57:58], v[234:235], v[238:239]
	s_delay_alu instid0(VALU_DEP_1) | instskip(SKIP_1) | instid1(VALU_DEP_1)
	v_fma_f64 v[242:243], v[232:233], v[236:237], -v[57:58]
	;; [unrolled: 5-line block ×15, first 2 shown]
	v_mul_f64_e32 v[128:129], v[128:129], v[134:135]
	v_fma_f64 v[140:141], v[130:131], v[132:133], v[128:129]
	scratch_load_b32 v128, off, off offset:72 th:TH_LOAD_LU ; 4-byte Folded Reload
	v_mov_b32_e32 v129, 0
	s_wait_loadcnt 0x0
	v_mul_i32_i24_e32 v128, 15, v128
	s_delay_alu instid0(VALU_DEP_1) | instskip(NEXT) | instid1(VALU_DEP_1)
	v_lshlrev_b64_e32 v[128:129], 4, v[128:129]
	v_add_co_u32 v142, vcc_lo, s12, v128
	s_wait_alu 0xfffd
	s_delay_alu instid0(VALU_DEP_2)
	v_add_co_ci_u32_e32 v143, vcc_lo, s13, v129, vcc_lo
	s_clause 0x1
	global_load_b128 v[128:131], v[142:143], off offset:32
	global_load_b128 v[132:135], v[142:143], off offset:48
	s_mov_b32 s12, 0xcf328d46
	s_mov_b32 s13, 0x3fed906b
	s_wait_alu 0xfffe
	s_mov_b32 s20, s12
	s_wait_loadcnt 0x1
	v_mul_f64_e32 v[148:149], v[24:25], v[130:131]
	s_delay_alu instid0(VALU_DEP_1) | instskip(SKIP_1) | instid1(VALU_DEP_1)
	v_fma_f64 v[148:149], v[26:27], v[128:129], -v[148:149]
	v_mul_f64_e32 v[26:27], v[26:27], v[130:131]
	v_fma_f64 v[150:151], v[24:25], v[128:129], v[26:27]
	s_clause 0x1
	global_load_b128 v[24:27], v[142:143], off offset:160
	global_load_b128 v[128:131], v[142:143], off offset:176
	s_wait_loadcnt 0x1
	v_mul_f64_e32 v[156:157], v[48:49], v[26:27]
	v_mul_f64_e32 v[26:27], v[50:51], v[26:27]
	s_delay_alu instid0(VALU_DEP_2) | instskip(NEXT) | instid1(VALU_DEP_2)
	v_fma_f64 v[156:157], v[50:51], v[24:25], -v[156:157]
	v_fma_f64 v[158:159], v[48:49], v[24:25], v[26:27]
	s_clause 0x1
	global_load_b128 v[24:27], v[142:143], off offset:96
	global_load_b128 v[48:51], v[142:143], off offset:112
	s_wait_loadcnt 0x1
	v_mul_f64_e32 v[164:165], v[42:43], v[26:27]
	v_mul_f64_e32 v[26:27], v[40:41], v[26:27]
	s_delay_alu instid0(VALU_DEP_2) | instskip(NEXT) | instid1(VALU_DEP_2)
	v_fma_f64 v[164:165], v[40:41], v[24:25], v[164:165]
	v_fma_f64 v[166:167], v[42:43], v[24:25], -v[26:27]
	global_load_b128 v[24:27], v[142:143], off offset:224
	s_wait_loadcnt 0x0
	v_mul_f64_e32 v[40:41], v[62:63], v[26:27]
	v_mul_f64_e32 v[26:27], v[60:61], v[26:27]
	s_delay_alu instid0(VALU_DEP_2) | instskip(NEXT) | instid1(VALU_DEP_2)
	v_fma_f64 v[172:173], v[60:61], v[24:25], v[40:41]
	v_fma_f64 v[60:61], v[62:63], v[24:25], -v[26:27]
	s_clause 0x1
	global_load_b128 v[24:27], v[142:143], off offset:16
	global_load_b128 v[40:43], v[142:143], off
	v_add_f64_e64 v[60:61], v[166:167], -v[60:61]
	s_wait_loadcnt 0x1
	v_mul_f64_e32 v[62:63], v[12:13], v[26:27]
	s_delay_alu instid0(VALU_DEP_1) | instskip(SKIP_1) | instid1(VALU_DEP_1)
	v_fma_f64 v[62:63], v[14:15], v[24:25], -v[62:63]
	v_mul_f64_e32 v[14:15], v[14:15], v[26:27]
	v_fma_f64 v[174:175], v[12:13], v[24:25], v[14:15]
	s_clause 0x1
	global_load_b128 v[12:15], v[142:143], off offset:144
	global_load_b128 v[24:27], v[142:143], off offset:128
	s_wait_loadcnt 0x1
	v_mul_f64_e32 v[180:181], v[44:45], v[14:15]
	v_mul_f64_e32 v[14:15], v[46:47], v[14:15]
	s_delay_alu instid0(VALU_DEP_2) | instskip(NEXT) | instid1(VALU_DEP_2)
	v_fma_f64 v[180:181], v[46:47], v[12:13], -v[180:181]
	v_fma_f64 v[182:183], v[44:45], v[12:13], v[14:15]
	s_clause 0x1
	global_load_b128 v[12:15], v[142:143], off offset:80
	global_load_b128 v[44:47], v[142:143], off offset:64
	s_wait_loadcnt 0x1
	v_mul_f64_e32 v[188:189], v[30:31], v[14:15]
	v_mul_f64_e32 v[14:15], v[28:29], v[14:15]
	s_delay_alu instid0(VALU_DEP_2) | instskip(NEXT) | instid1(VALU_DEP_2)
	v_fma_f64 v[188:189], v[28:29], v[12:13], v[188:189]
	v_fma_f64 v[190:191], v[30:31], v[12:13], -v[14:15]
	s_clause 0x1
	global_load_b128 v[12:15], v[142:143], off offset:208
	global_load_b128 v[28:31], v[142:143], off offset:192
	s_wait_loadcnt 0x1
	v_mul_f64_e32 v[142:143], v[54:55], v[14:15]
	v_mul_f64_e32 v[14:15], v[52:53], v[14:15]
	s_delay_alu instid0(VALU_DEP_2) | instskip(NEXT) | instid1(VALU_DEP_2)
	v_fma_f64 v[142:143], v[52:53], v[12:13], v[142:143]
	v_fma_f64 v[12:13], v[54:55], v[12:13], -v[14:15]
	v_mul_f64_e32 v[14:15], v[4:5], v[42:43]
	v_mul_f64_e32 v[54:55], v[200:201], v[102:103]
	;; [unrolled: 1-line block ×3, first 2 shown]
	s_delay_alu instid0(VALU_DEP_4) | instskip(NEXT) | instid1(VALU_DEP_4)
	v_add_f64_e64 v[12:13], v[190:191], -v[12:13]
	v_fma_f64 v[14:15], v[6:7], v[40:41], -v[14:15]
	v_mul_f64_e32 v[6:7], v[6:7], v[42:43]
	s_delay_alu instid0(VALU_DEP_4) | instskip(SKIP_1) | instid1(VALU_DEP_3)
	v_fma_f64 v[52:53], v[104:105], v[208:209], v[52:53]
	v_mul_f64_e32 v[42:43], v[224:225], v[114:115]
	v_fma_f64 v[40:41], v[4:5], v[40:41], v[6:7]
	v_mul_f64_e32 v[4:5], v[32:33], v[26:27]
	v_mul_f64_e32 v[6:7], v[34:35], v[26:27]
	s_delay_alu instid0(VALU_DEP_4) | instskip(NEXT) | instid1(VALU_DEP_3)
	v_fma_f64 v[42:43], v[112:113], v[234:235], -v[42:43]
	v_fma_f64 v[4:5], v[34:35], v[24:25], -v[4:5]
	s_delay_alu instid0(VALU_DEP_3) | instskip(SKIP_2) | instid1(VALU_DEP_1)
	v_fma_f64 v[6:7], v[32:33], v[24:25], v[6:7]
	scratch_load_b128 v[32:35], off, off offset:12 th:TH_LOAD_LU ; 16-byte Folded Reload
	v_mul_f64_e32 v[24:25], v[18:19], v[46:47]
	v_fma_f64 v[24:25], v[16:17], v[44:45], v[24:25]
	v_mul_f64_e32 v[16:17], v[16:17], v[46:47]
	v_mul_f64_e32 v[46:47], v[216:217], v[110:111]
	s_delay_alu instid0(VALU_DEP_2) | instskip(SKIP_2) | instid1(VALU_DEP_4)
	v_fma_f64 v[16:17], v[18:19], v[44:45], -v[16:17]
	v_mul_f64_e32 v[44:45], v[234:235], v[114:115]
	v_add_f64_e64 v[114:115], v[40:41], -v[6:7]
	v_fma_f64 v[46:47], v[108:109], v[226:227], -v[46:47]
	s_delay_alu instid0(VALU_DEP_3) | instskip(SKIP_1) | instid1(VALU_DEP_4)
	v_fma_f64 v[44:45], v[112:113], v[224:225], v[44:45]
	v_add_f64_e64 v[112:113], v[174:175], -v[182:183]
	v_fma_f64 v[40:41], v[40:41], 2.0, -v[114:115]
	s_wait_loadcnt 0x0
	v_mul_f64_e32 v[18:19], v[34:35], v[30:31]
	v_mul_f64_e32 v[26:27], v[32:33], v[30:31]
	;; [unrolled: 1-line block ×3, first 2 shown]
	s_delay_alu instid0(VALU_DEP_3) | instskip(SKIP_1) | instid1(VALU_DEP_4)
	v_fma_f64 v[18:19], v[32:33], v[28:29], v[18:19]
	v_mul_f64_e32 v[32:33], v[20:21], v[50:51]
	v_fma_f64 v[26:27], v[34:35], v[28:29], -v[26:27]
	scratch_load_b64 v[34:35], off, off offset:76 th:TH_LOAD_LU ; 8-byte Folded Reload
	v_mul_f64_e32 v[28:29], v[10:11], v[134:135]
	v_fma_f64 v[30:31], v[38:39], v[128:129], -v[30:31]
	v_add_f64_e64 v[18:19], v[24:25], -v[18:19]
	v_fma_f64 v[32:33], v[22:23], v[48:49], -v[32:33]
	v_mul_f64_e32 v[22:23], v[22:23], v[50:51]
	v_mul_f64_e32 v[50:51], v[208:209], v[106:107]
	v_fma_f64 v[28:29], v[8:9], v[132:133], v[28:29]
	v_mul_f64_e32 v[8:9], v[8:9], v[134:135]
	v_add_f64_e64 v[26:27], v[16:17], -v[26:27]
	v_add_f64_e64 v[106:107], v[62:63], -v[180:181]
	v_add_f64_e32 v[134:135], v[112:113], v[12:13]
	v_fma_f64 v[12:13], v[190:191], 2.0, -v[12:13]
	v_fma_f64 v[20:21], v[20:21], v[48:49], v[22:23]
	v_fma_f64 v[50:51], v[104:105], v[57:58], -v[50:51]
	v_fma_f64 v[57:58], v[100:101], v[210:211], -v[54:55]
	v_mul_f64_e32 v[54:55], v[210:211], v[102:103]
	v_fma_f64 v[8:9], v[10:11], v[132:133], -v[8:9]
	v_mul_f64_e32 v[10:11], v[38:39], v[130:131]
	v_mul_f64_e32 v[22:23], v[248:249], v[126:127]
	v_add_f64_e64 v[102:103], v[164:165], -v[172:173]
	v_add_f64_e64 v[104:105], v[148:149], -v[156:157]
	v_mul_f64_e32 v[38:39], v[242:243], v[118:119]
	v_mul_f64_e32 v[48:49], v[226:227], v[110:111]
	v_add_f64_e64 v[110:111], v[150:151], -v[158:159]
	v_add_f64_e32 v[130:131], v[114:115], v[26:27]
	v_fma_f64 v[16:17], v[16:17], 2.0, -v[26:27]
	v_fma_f64 v[26:27], v[166:167], 2.0, -v[60:61]
	v_fma_f64 v[54:55], v[100:101], v[200:201], v[54:55]
	v_mul_f64_e32 v[100:101], v[192:193], v[98:99]
	v_mul_f64_e32 v[98:99], v[202:203], v[98:99]
	v_fma_f64 v[10:11], v[36:37], v[128:129], v[10:11]
	v_mul_f64_e32 v[36:37], v[232:233], v[118:119]
	v_add_f64_e64 v[30:31], v[8:9], -v[30:31]
	v_fma_f64 v[38:39], v[116:117], v[232:233], v[38:39]
	v_fma_f64 v[48:49], v[108:109], v[216:217], v[48:49]
	v_add_f64_e64 v[108:109], v[2:3], -v[32:33]
	v_add_f64_e64 v[32:33], v[188:189], -v[142:143]
	v_fma_f64 v[100:101], v[96:97], v[202:203], -v[100:101]
	v_fma_f64 v[96:97], v[96:97], v[192:193], v[98:99]
	v_mul_f64_e32 v[98:99], v[194:195], v[94:95]
	v_mul_f64_e32 v[94:95], v[184:185], v[94:95]
	v_fma_f64 v[36:37], v[116:117], v[242:243], -v[36:37]
	v_add_f64_e64 v[116:117], v[0:1], -v[20:21]
	v_add_f64_e64 v[10:11], v[28:29], -v[10:11]
	v_fma_f64 v[8:9], v[8:9], 2.0, -v[30:31]
	v_fma_f64 v[98:99], v[92:93], v[184:185], v[98:99]
	v_fma_f64 v[92:93], v[92:93], v[194:195], -v[94:95]
	v_mul_f64_e32 v[94:95], v[186:187], v[90:91]
	v_mul_f64_e32 v[90:91], v[176:177], v[90:91]
	v_add_f64_e64 v[142:143], v[108:109], -v[10:11]
	s_delay_alu instid0(VALU_DEP_3) | instskip(NEXT) | instid1(VALU_DEP_3)
	v_fma_f64 v[94:95], v[88:89], v[176:177], v[94:95]
	v_fma_f64 v[88:89], v[88:89], v[186:187], -v[90:91]
	v_mul_f64_e32 v[90:91], v[178:179], v[86:87]
	v_mul_f64_e32 v[86:87], v[168:169], v[86:87]
	s_delay_alu instid0(VALU_DEP_2) | instskip(NEXT) | instid1(VALU_DEP_2)
	v_fma_f64 v[90:91], v[84:85], v[168:169], v[90:91]
	v_fma_f64 v[84:85], v[84:85], v[178:179], -v[86:87]
	v_mul_f64_e32 v[86:87], v[170:171], v[82:83]
	v_mul_f64_e32 v[82:83], v[160:161], v[82:83]
	s_delay_alu instid0(VALU_DEP_2) | instskip(NEXT) | instid1(VALU_DEP_2)
	v_fma_f64 v[86:87], v[80:81], v[160:161], v[86:87]
	v_fma_f64 v[80:81], v[80:81], v[170:171], -v[82:83]
	v_mul_f64_e32 v[82:83], v[162:163], v[78:79]
	v_mul_f64_e32 v[78:79], v[152:153], v[78:79]
	s_wait_loadcnt 0x0
	v_fma_f64 v[128:129], v[124:125], v[34:35], -v[22:23]
	v_mul_f64_e32 v[22:23], v[34:35], v[126:127]
	v_mul_f64_e32 v[34:35], v[250:251], v[122:123]
	v_fma_f64 v[82:83], v[76:77], v[152:153], v[82:83]
	v_fma_f64 v[76:77], v[76:77], v[162:163], -v[78:79]
	v_mul_f64_e32 v[78:79], v[154:155], v[74:75]
	v_mul_f64_e32 v[74:75], v[144:145], v[74:75]
	v_fma_f64 v[124:125], v[124:125], v[248:249], v[22:23]
	v_mul_f64_e32 v[22:23], v[240:241], v[122:123]
	v_fma_f64 v[34:35], v[120:121], v[240:241], v[34:35]
	v_add_f64_e32 v[122:123], v[110:111], v[60:61]
	v_fma_f64 v[60:61], v[148:149], 2.0, -v[104:105]
	v_fma_f64 v[78:79], v[72:73], v[144:145], v[78:79]
	v_fma_f64 v[72:73], v[72:73], v[154:155], -v[74:75]
	v_mul_f64_e32 v[74:75], v[146:147], v[70:71]
	v_mul_f64_e32 v[70:71], v[136:137], v[70:71]
	v_fma_f64 v[22:23], v[120:121], v[250:251], -v[22:23]
	v_add_f64_e64 v[120:121], v[104:105], -v[102:103]
	v_add_f64_e64 v[26:27], v[60:61], -v[26:27]
	v_fma_f64 v[74:75], v[68:69], v[136:137], v[74:75]
	v_fma_f64 v[68:69], v[68:69], v[146:147], -v[70:71]
	v_mul_f64_e32 v[70:71], v[138:139], v[66:67]
	v_mul_f64_e32 v[66:67], v[140:141], v[66:67]
	v_add_f64_e32 v[136:137], v[116:117], v[30:31]
	v_fma_f64 v[30:31], v[2:3], 2.0, -v[108:109]
	s_delay_alu instid0(VALU_DEP_4) | instskip(NEXT) | instid1(VALU_DEP_4)
	v_fma_f64 v[70:71], v[64:65], v[140:141], v[70:71]
	v_fma_f64 v[64:65], v[64:65], v[138:139], -v[66:67]
	v_add_f64_e64 v[66:67], v[14:15], -v[4:5]
	v_add_f64_e64 v[138:139], v[106:107], -v[32:33]
	;; [unrolled: 1-line block ×3, first 2 shown]
	s_delay_alu instid0(VALU_DEP_3) | instskip(SKIP_3) | instid1(VALU_DEP_4)
	v_add_f64_e64 v[118:119], v[66:67], -v[18:19]
	v_fma_f64 v[18:19], v[24:25], 2.0, -v[18:19]
	v_fma_f64 v[24:25], v[164:165], 2.0, -v[102:103]
	;; [unrolled: 1-line block ×3, first 2 shown]
	v_fma_f64 v[4:5], v[120:121], s[16:17], v[118:119]
	v_fma_f64 v[66:67], v[66:67], 2.0, -v[118:119]
	s_delay_alu instid0(VALU_DEP_2) | instskip(SKIP_1) | instid1(VALU_DEP_1)
	v_fma_f64 v[126:127], v[122:123], s[14:15], v[4:5]
	v_fma_f64 v[4:5], v[122:123], s[16:17], v[130:131]
	;; [unrolled: 1-line block ×4, first 2 shown]
	s_delay_alu instid0(VALU_DEP_1) | instskip(SKIP_1) | instid1(VALU_DEP_1)
	v_fma_f64 v[140:141], v[138:139], s[16:17], v[4:5]
	v_fma_f64 v[4:5], v[138:139], s[16:17], v[142:143]
	;; [unrolled: 1-line block ×3, first 2 shown]
	s_delay_alu instid0(VALU_DEP_3) | instskip(NEXT) | instid1(VALU_DEP_1)
	v_fma_f64 v[4:5], v[132:133], s[12:13], v[140:141]
	v_fma_f64 v[146:147], v[126:127], s[10:11], v[4:5]
	s_delay_alu instid0(VALU_DEP_3) | instskip(NEXT) | instid1(VALU_DEP_1)
	v_fma_f64 v[4:5], v[126:127], s[12:13], v[144:145]
	v_fma_f64 v[152:153], v[132:133], s[8:9], v[4:5]
	s_delay_alu instid0(VALU_DEP_3) | instskip(NEXT) | instid1(VALU_DEP_2)
	v_fma_f64 v[4:5], v[140:141], 2.0, -v[146:147]
	v_fma_f64 v[6:7], v[144:145], 2.0, -v[152:153]
	s_delay_alu instid0(VALU_DEP_2) | instskip(NEXT) | instid1(VALU_DEP_2)
	v_mul_f64_e32 v[20:21], v[4:5], v[98:99]
	v_mul_f64_e32 v[98:99], v[6:7], v[98:99]
	s_delay_alu instid0(VALU_DEP_2)
	v_fma_f64 v[6:7], v[6:7], v[92:93], -v[20:21]
	v_fma_f64 v[20:21], v[188:189], 2.0, -v[32:33]
	v_fma_f64 v[32:33], v[0:1], 2.0, -v[116:117]
	;; [unrolled: 1-line block ×5, first 2 shown]
	v_fma_f64 v[4:5], v[4:5], v[92:93], v[98:99]
	v_fma_f64 v[92:93], v[174:175], 2.0, -v[112:113]
	v_add_f64_e64 v[98:99], v[40:41], -v[18:19]
	v_add_f64_e64 v[102:103], v[32:33], -v[0:1]
	v_add_f64_e64 v[12:13], v[28:29], -v[12:13]
	v_add_f64_e64 v[18:19], v[62:63], -v[24:25]
	v_add_f64_e64 v[24:25], v[14:15], -v[16:17]
	v_add_f64_e64 v[16:17], v[92:93], -v[20:21]
	v_add_f64_e32 v[20:21], v[98:99], v[26:27]
	v_add_f64_e32 v[150:151], v[102:103], v[12:13]
	v_fma_f64 v[12:13], v[28:29], 2.0, -v[12:13]
	v_add_f64_e64 v[154:155], v[24:25], -v[18:19]
	v_fma_f64 v[18:19], v[62:63], 2.0, -v[18:19]
	v_fma_f64 v[62:63], v[14:15], 2.0, -v[24:25]
	v_add_f64_e64 v[156:157], v[148:149], -v[16:17]
	v_fma_f64 v[16:17], v[92:93], 2.0, -v[16:17]
	v_fma_f64 v[92:93], v[40:41], 2.0, -v[98:99]
	v_fma_f64 v[0:1], v[20:21], s[16:17], v[150:151]
	s_delay_alu instid0(VALU_DEP_4) | instskip(NEXT) | instid1(VALU_DEP_3)
	v_fma_f64 v[28:29], v[148:149], 2.0, -v[156:157]
	v_add_f64_e64 v[162:163], v[92:93], -v[18:19]
	s_delay_alu instid0(VALU_DEP_3) | instskip(SKIP_1) | instid1(VALU_DEP_1)
	v_fma_f64 v[8:9], v[154:155], s[16:17], v[0:1]
	v_fma_f64 v[0:1], v[154:155], s[16:17], v[156:157]
	;; [unrolled: 1-line block ×3, first 2 shown]
	s_delay_alu instid0(VALU_DEP_3) | instskip(SKIP_1) | instid1(VALU_DEP_3)
	v_mul_f64_e32 v[0:1], v[8:9], v[34:35]
	v_fma_f64 v[20:21], v[98:99], 2.0, -v[20:21]
	v_mul_f64_e32 v[34:35], v[10:11], v[34:35]
	s_delay_alu instid0(VALU_DEP_3) | instskip(SKIP_1) | instid1(VALU_DEP_3)
	v_fma_f64 v[2:3], v[10:11], v[22:23], -v[0:1]
	v_fma_f64 v[10:11], v[156:157], 2.0, -v[10:11]
	v_fma_f64 v[0:1], v[8:9], v[22:23], v[34:35]
	v_fma_f64 v[8:9], v[150:151], 2.0, -v[8:9]
	s_delay_alu instid0(VALU_DEP_3) | instskip(NEXT) | instid1(VALU_DEP_2)
	v_mul_f64_e32 v[34:35], v[10:11], v[94:95]
	v_mul_f64_e32 v[22:23], v[8:9], v[94:95]
	s_delay_alu instid0(VALU_DEP_2) | instskip(SKIP_1) | instid1(VALU_DEP_3)
	v_fma_f64 v[8:9], v[8:9], v[88:89], v[34:35]
	v_fma_f64 v[34:35], v[142:143], 2.0, -v[144:145]
	v_fma_f64 v[10:11], v[10:11], v[88:89], -v[22:23]
	v_fma_f64 v[22:23], v[60:61], 2.0, -v[26:27]
	v_fma_f64 v[88:89], v[32:33], 2.0, -v[102:103]
	;; [unrolled: 1-line block ×3, first 2 shown]
	s_delay_alu instid0(VALU_DEP_3) | instskip(NEXT) | instid1(VALU_DEP_3)
	v_add_f64_e64 v[158:159], v[62:63], -v[22:23]
	v_add_f64_e64 v[160:161], v[88:89], -v[16:17]
	s_delay_alu instid0(VALU_DEP_3) | instskip(NEXT) | instid1(VALU_DEP_2)
	v_add_f64_e64 v[94:95], v[60:61], -v[12:13]
	v_add_f64_e32 v[16:17], v[160:161], v[158:159]
	s_delay_alu instid0(VALU_DEP_2) | instskip(NEXT) | instid1(VALU_DEP_2)
	v_add_f64_e64 v[18:19], v[94:95], -v[162:163]
	v_mul_f64_e32 v[12:13], v[16:17], v[44:45]
	s_delay_alu instid0(VALU_DEP_2) | instskip(NEXT) | instid1(VALU_DEP_2)
	v_mul_f64_e32 v[22:23], v[18:19], v[44:45]
	v_fma_f64 v[14:15], v[18:19], v[42:43], -v[12:13]
	v_fma_f64 v[18:19], v[94:95], 2.0, -v[18:19]
	s_delay_alu instid0(VALU_DEP_3) | instskip(SKIP_1) | instid1(VALU_DEP_3)
	v_fma_f64 v[12:13], v[16:17], v[42:43], v[22:23]
	v_fma_f64 v[16:17], v[160:161], 2.0, -v[16:17]
	v_mul_f64_e32 v[26:27], v[18:19], v[86:87]
	s_delay_alu instid0(VALU_DEP_2) | instskip(NEXT) | instid1(VALU_DEP_2)
	v_mul_f64_e32 v[22:23], v[16:17], v[86:87]
	v_fma_f64 v[16:17], v[16:17], v[80:81], v[26:27]
	v_fma_f64 v[26:27], v[102:103], 2.0, -v[150:151]
	s_delay_alu instid0(VALU_DEP_3) | instskip(SKIP_1) | instid1(VALU_DEP_3)
	v_fma_f64 v[18:19], v[18:19], v[80:81], -v[22:23]
	v_fma_f64 v[22:23], v[24:25], 2.0, -v[154:155]
	v_fma_f64 v[24:25], v[20:21], s[14:15], v[26:27]
	s_delay_alu instid0(VALU_DEP_1) | instskip(SKIP_1) | instid1(VALU_DEP_1)
	v_fma_f64 v[24:25], v[22:23], s[16:17], v[24:25]
	v_fma_f64 v[22:23], v[22:23], s[14:15], v[28:29]
	;; [unrolled: 1-line block ×3, first 2 shown]
	s_delay_alu instid0(VALU_DEP_3) | instskip(NEXT) | instid1(VALU_DEP_2)
	v_mul_f64_e32 v[20:21], v[24:25], v[52:53]
	v_mul_f64_e32 v[32:33], v[30:31], v[52:53]
	s_delay_alu instid0(VALU_DEP_2) | instskip(SKIP_1) | instid1(VALU_DEP_3)
	v_fma_f64 v[22:23], v[30:31], v[50:51], -v[20:21]
	v_fma_f64 v[52:53], v[108:109], 2.0, -v[142:143]
	v_fma_f64 v[20:21], v[24:25], v[50:51], v[32:33]
	v_fma_f64 v[24:25], v[26:27], 2.0, -v[24:25]
	v_fma_f64 v[26:27], v[28:29], 2.0, -v[30:31]
	;; [unrolled: 1-line block ×4, first 2 shown]
	s_delay_alu instid0(VALU_DEP_4) | instskip(NEXT) | instid1(VALU_DEP_4)
	v_mul_f64_e32 v[28:29], v[24:25], v[78:79]
	v_mul_f64_e32 v[30:31], v[26:27], v[78:79]
	s_delay_alu instid0(VALU_DEP_2) | instskip(SKIP_1) | instid1(VALU_DEP_3)
	v_fma_f64 v[26:27], v[26:27], v[72:73], -v[28:29]
	v_fma_f64 v[28:29], v[130:131], 2.0, -v[132:133]
	v_fma_f64 v[24:25], v[24:25], v[72:73], v[30:31]
	v_fma_f64 v[30:31], v[118:119], 2.0, -v[126:127]
	v_fma_f64 v[72:73], v[114:115], 2.0, -v[130:131]
	s_delay_alu instid0(VALU_DEP_4) | instskip(NEXT) | instid1(VALU_DEP_1)
	v_fma_f64 v[40:41], v[28:29], s[8:9], v[32:33]
	v_fma_f64 v[40:41], v[30:31], s[12:13], v[40:41]
	;; [unrolled: 1-line block ×3, first 2 shown]
	s_delay_alu instid0(VALU_DEP_2) | instskip(SKIP_1) | instid1(VALU_DEP_2)
	v_fma_f64 v[32:33], v[32:33], 2.0, -v[40:41]
	s_wait_alu 0xfffe
	v_fma_f64 v[42:43], v[28:29], s[20:21], v[30:31]
	v_mul_f64_e32 v[28:29], v[40:41], v[48:49]
	s_delay_alu instid0(VALU_DEP_2) | instskip(NEXT) | instid1(VALU_DEP_2)
	v_mul_f64_e32 v[44:45], v[42:43], v[48:49]
	v_fma_f64 v[30:31], v[42:43], v[46:47], -v[28:29]
	v_fma_f64 v[34:35], v[34:35], 2.0, -v[42:43]
	s_delay_alu instid0(VALU_DEP_3) | instskip(SKIP_1) | instid1(VALU_DEP_3)
	v_fma_f64 v[28:29], v[40:41], v[46:47], v[44:45]
	v_mul_f64_e32 v[40:41], v[32:33], v[82:83]
	v_mul_f64_e32 v[42:43], v[34:35], v[82:83]
	v_fma_f64 v[44:45], v[112:113], 2.0, -v[134:135]
	v_fma_f64 v[46:47], v[104:105], 2.0, -v[120:121]
	s_delay_alu instid0(VALU_DEP_4) | instskip(SKIP_4) | instid1(VALU_DEP_4)
	v_fma_f64 v[34:35], v[34:35], v[76:77], -v[40:41]
	v_fma_f64 v[40:41], v[106:107], 2.0, -v[138:139]
	v_fma_f64 v[32:33], v[32:33], v[76:77], v[42:43]
	v_fma_f64 v[76:77], v[116:117], 2.0, -v[136:137]
	v_fma_f64 v[42:43], v[110:111], 2.0, -v[122:123]
	v_fma_f64 v[48:49], v[40:41], s[14:15], v[52:53]
	s_delay_alu instid0(VALU_DEP_1) | instskip(NEXT) | instid1(VALU_DEP_4)
	v_fma_f64 v[78:79], v[44:45], s[14:15], v[48:49]
	v_fma_f64 v[44:45], v[44:45], s[14:15], v[76:77]
	v_fma_f64 v[48:49], v[60:61], 2.0, -v[94:95]
	s_delay_alu instid0(VALU_DEP_2) | instskip(SKIP_1) | instid1(VALU_DEP_1)
	v_fma_f64 v[80:81], v[40:41], s[16:17], v[44:45]
	v_fma_f64 v[40:41], v[42:43], s[14:15], v[72:73]
	;; [unrolled: 1-line block ×4, first 2 shown]
	s_delay_alu instid0(VALU_DEP_1) | instskip(NEXT) | instid1(VALU_DEP_3)
	v_fma_f64 v[86:87], v[42:43], s[14:15], v[40:41]
	v_fma_f64 v[40:41], v[82:83], s[10:11], v[80:81]
	s_delay_alu instid0(VALU_DEP_2) | instskip(NEXT) | instid1(VALU_DEP_2)
	v_fma_f64 v[42:43], v[86:87], s[10:11], v[78:79]
	v_fma_f64 v[40:41], v[86:87], s[12:13], v[40:41]
	s_delay_alu instid0(VALU_DEP_2) | instskip(NEXT) | instid1(VALU_DEP_2)
	v_fma_f64 v[42:43], v[82:83], s[20:21], v[42:43]
	v_mul_f64_e32 v[44:45], v[40:41], v[38:39]
	s_delay_alu instid0(VALU_DEP_2) | instskip(NEXT) | instid1(VALU_DEP_2)
	v_mul_f64_e32 v[46:47], v[42:43], v[38:39]
	v_fma_f64 v[38:39], v[42:43], v[36:37], -v[44:45]
	v_fma_f64 v[42:43], v[78:79], 2.0, -v[42:43]
	s_delay_alu instid0(VALU_DEP_3) | instskip(SKIP_1) | instid1(VALU_DEP_3)
	v_fma_f64 v[36:37], v[40:41], v[36:37], v[46:47]
	v_fma_f64 v[40:41], v[80:81], 2.0, -v[40:41]
	v_mul_f64_e32 v[46:47], v[42:43], v[90:91]
	s_delay_alu instid0(VALU_DEP_2) | instskip(NEXT) | instid1(VALU_DEP_2)
	v_mul_f64_e32 v[44:45], v[40:41], v[90:91]
	v_fma_f64 v[40:41], v[40:41], v[84:85], v[46:47]
	v_fma_f64 v[46:47], v[62:63], 2.0, -v[158:159]
	s_delay_alu instid0(VALU_DEP_3) | instskip(SKIP_1) | instid1(VALU_DEP_3)
	v_fma_f64 v[42:43], v[42:43], v[84:85], -v[44:45]
	v_fma_f64 v[44:45], v[92:93], 2.0, -v[162:163]
	v_add_f64_e64 v[62:63], v[48:49], -v[46:47]
	s_delay_alu instid0(VALU_DEP_2) | instskip(NEXT) | instid1(VALU_DEP_2)
	v_add_f64_e64 v[60:61], v[50:51], -v[44:45]
	v_mul_f64_e32 v[84:85], v[62:63], v[96:97]
	v_fma_f64 v[48:49], v[48:49], 2.0, -v[62:63]
	s_delay_alu instid0(VALU_DEP_3) | instskip(NEXT) | instid1(VALU_DEP_1)
	v_mul_f64_e32 v[44:45], v[60:61], v[96:97]
	v_fma_f64 v[46:47], v[62:63], v[100:101], -v[44:45]
	s_delay_alu instid0(VALU_DEP_4) | instskip(SKIP_2) | instid1(VALU_DEP_2)
	v_fma_f64 v[44:45], v[60:61], v[100:101], v[84:85]
	v_fma_f64 v[60:61], v[50:51], 2.0, -v[60:61]
	v_mul_f64_e32 v[62:63], v[70:71], v[48:49]
	v_mul_f64_e32 v[50:51], v[70:71], v[60:61]
	s_delay_alu instid0(VALU_DEP_1) | instskip(NEXT) | instid1(VALU_DEP_3)
	v_fma_f64 v[50:51], v[64:65], v[48:49], -v[50:51]
	v_fma_f64 v[48:49], v[64:65], v[60:61], v[62:63]
	v_fma_f64 v[60:61], v[72:73], 2.0, -v[82:83]
	v_fma_f64 v[62:63], v[76:77], 2.0, -v[80:81]
	;; [unrolled: 1-line block ×4, first 2 shown]
	s_delay_alu instid0(VALU_DEP_3) | instskip(NEXT) | instid1(VALU_DEP_1)
	v_fma_f64 v[66:67], v[60:61], s[20:21], v[62:63]
	v_fma_f64 v[66:67], v[52:53], s[10:11], v[66:67]
	s_delay_alu instid0(VALU_DEP_4) | instskip(NEXT) | instid1(VALU_DEP_1)
	v_fma_f64 v[52:53], v[52:53], s[20:21], v[64:65]
	v_fma_f64 v[60:61], v[60:61], s[8:9], v[52:53]
	s_delay_alu instid0(VALU_DEP_3) | instskip(NEXT) | instid1(VALU_DEP_2)
	v_mul_f64_e32 v[52:53], v[66:67], v[54:55]
	v_mul_f64_e32 v[70:71], v[60:61], v[54:55]
	s_delay_alu instid0(VALU_DEP_2) | instskip(SKIP_1) | instid1(VALU_DEP_3)
	v_fma_f64 v[54:55], v[60:61], v[57:58], -v[52:53]
	v_fma_f64 v[60:61], v[64:65], 2.0, -v[60:61]
	v_fma_f64 v[52:53], v[66:67], v[57:58], v[70:71]
	ds_store_b128 v59, v[8:11] offset:1248
	ds_store_b128 v59, v[4:7] offset:1456
	;; [unrolled: 1-line block ×12, first 2 shown]
	scratch_load_b32 v4, off, off offset:8 th:TH_LOAD_LU ; 4-byte Folded Reload
	v_fma_f64 v[57:58], v[62:63], 2.0, -v[66:67]
	v_mul_f64_e32 v[64:65], v[60:61], v[74:75]
	s_delay_alu instid0(VALU_DEP_2) | instskip(NEXT) | instid1(VALU_DEP_1)
	v_mul_f64_e32 v[62:63], v[57:58], v[74:75]
	v_fma_f64 v[62:63], v[60:61], v[68:69], -v[62:63]
	s_delay_alu instid0(VALU_DEP_3) | instskip(SKIP_2) | instid1(VALU_DEP_2)
	v_fma_f64 v[60:61], v[57:58], v[68:69], v[64:65]
	v_mul_f64_e32 v[57:58], v[146:147], v[124:125]
	v_mul_f64_e32 v[64:65], v[152:153], v[124:125]
	v_fma_f64 v[66:67], v[152:153], v[128:129], -v[57:58]
	s_delay_alu instid0(VALU_DEP_2)
	v_fma_f64 v[64:65], v[146:147], v[128:129], v[64:65]
	s_wait_loadcnt 0x0
	ds_store_b128 v4, v[48:51]
	ds_store_b128 v59, v[60:63] offset:208
	ds_store_b128 v59, v[0:3] offset:2912
	;; [unrolled: 1-line block ×3, first 2 shown]
.LBB0_21:
	s_wait_alu 0xfffe
	s_or_b32 exec_lo, exec_lo, s18
	global_wb scope:SCOPE_SE
	s_wait_storecnt_dscnt 0x0
	s_barrier_signal -1
	s_barrier_wait -1
	global_inv scope:SCOPE_SE
	s_and_saveexec_b32 s8, s33
	s_cbranch_execz .LBB0_23
; %bb.22:
	s_clause 0x4
	scratch_load_b32 v2, off, off th:TH_LOAD_LU
	scratch_load_b32 v3, off, off offset:4 th:TH_LOAD_LU
	scratch_load_b32 v16, off, off offset:64 th:TH_LOAD_LU
	;; [unrolled: 1-line block ×4, first 2 shown]
	v_mad_co_u64_u32 v[6:7], null, s0, v56, 0
	s_lshl_b64 s[6:7], s[6:7], 4
	v_lshlrev_b32_e32 v1, 4, v56
	s_wait_loadcnt 0x4
	v_mad_co_u64_u32 v[4:5], null, s2, v2, 0
	s_wait_loadcnt 0x3
	s_delay_alu instid0(VALU_DEP_2) | instskip(NEXT) | instid1(VALU_DEP_4)
	v_add3_u32 v31, 0, v3, v1
	v_mov_b32_e32 v1, v7
	s_wait_loadcnt 0x1
	v_mad_co_u64_u32 v[13:14], null, s0, v18, 0
	s_delay_alu instid0(VALU_DEP_4) | instskip(NEXT) | instid1(VALU_DEP_1)
	v_dual_mov_b32 v0, v5 :: v_dual_add_nc_u32 v15, 16, v56
	v_mad_co_u64_u32 v[2:3], null, s3, v2, v[0:1]
	s_wait_alu 0xfffe
	s_add_nc_u64 s[2:3], s[4:5], s[6:7]
	s_delay_alu instid0(VALU_DEP_1) | instskip(SKIP_1) | instid1(VALU_DEP_1)
	v_mad_co_u64_u32 v[10:11], null, s1, v56, v[1:2]
	v_mad_co_u64_u32 v[11:12], null, s0, v16, 0
	v_dual_mov_b32 v7, v10 :: v_dual_mov_b32 v10, v12
	v_mov_b32_e32 v12, v14
	v_mad_co_u64_u32 v[8:9], null, s0, v15, 0
	s_delay_alu instid0(VALU_DEP_3) | instskip(NEXT) | instid1(VALU_DEP_4)
	v_lshlrev_b64_e32 v[6:7], 4, v[6:7]
	v_mad_co_u64_u32 v[16:17], null, s1, v16, v[10:11]
	v_mov_b32_e32 v5, v2
	ds_load_b128 v[0:3], v31
	v_mad_co_u64_u32 v[17:18], null, s1, v18, v[12:13]
	v_mov_b32_e32 v12, v16
	v_lshlrev_b64_e32 v[4:5], 4, v[4:5]
	s_delay_alu instid0(VALU_DEP_2) | instskip(SKIP_1) | instid1(VALU_DEP_2)
	v_lshlrev_b64_e32 v[19:20], 4, v[11:12]
	s_wait_alu 0xfffe
	v_add_co_u32 v32, vcc_lo, s2, v4
	s_wait_alu 0xfffd
	s_delay_alu instid0(VALU_DEP_3) | instskip(SKIP_1) | instid1(VALU_DEP_3)
	v_add_co_ci_u32_e32 v33, vcc_lo, s3, v5, vcc_lo
	v_mad_co_u64_u32 v[4:5], null, s1, v15, v[9:10]
	v_add_co_u32 v14, vcc_lo, v32, v6
	s_wait_alu 0xfffd
	s_delay_alu instid0(VALU_DEP_3) | instskip(NEXT) | instid1(VALU_DEP_3)
	v_add_co_ci_u32_e32 v15, vcc_lo, v33, v7, vcc_lo
	v_mov_b32_e32 v9, v4
	ds_load_b128 v[4:7], v31 offset:256
	s_wait_dscnt 0x1
	global_store_b128 v[14:15], v[0:3], off
	s_wait_loadcnt 0x0
	v_mad_co_u64_u32 v[15:16], null, s0, v23, 0
	v_mov_b32_e32 v14, v17
	s_delay_alu instid0(VALU_DEP_1) | instskip(NEXT) | instid1(VALU_DEP_3)
	v_lshlrev_b64_e32 v[12:13], 4, v[13:14]
	v_mov_b32_e32 v14, v16
	v_lshlrev_b64_e32 v[0:1], 4, v[8:9]
	s_delay_alu instid0(VALU_DEP_2) | instskip(NEXT) | instid1(VALU_DEP_2)
	v_mad_co_u64_u32 v[23:24], null, s1, v23, v[14:15]
	v_add_co_u32 v17, vcc_lo, v32, v0
	s_wait_alu 0xfffd
	s_delay_alu instid0(VALU_DEP_3)
	v_add_co_ci_u32_e32 v18, vcc_lo, v33, v1, vcc_lo
	ds_load_b128 v[0:3], v31 offset:512
	ds_load_b128 v[8:11], v31 offset:768
	s_clause 0x1
	scratch_load_b32 v27, off, off offset:56 th:TH_LOAD_LU
	scratch_load_b32 v26, off, off offset:52 th:TH_LOAD_LU
	v_add_co_u32 v19, vcc_lo, v32, v19
	s_wait_alu 0xfffd
	v_add_co_ci_u32_e32 v20, vcc_lo, v33, v20, vcc_lo
	v_add_co_u32 v12, vcc_lo, v32, v12
	s_wait_alu 0xfffd
	v_add_co_ci_u32_e32 v13, vcc_lo, v33, v13, vcc_lo
	s_wait_dscnt 0x2
	global_store_b128 v[17:18], v[4:7], off
	s_wait_dscnt 0x1
	global_store_b128 v[19:20], v[0:3], off
	;; [unrolled: 2-line block ×3, first 2 shown]
	scratch_load_b32 v12, off, off offset:48 th:TH_LOAD_LU ; 4-byte Folded Reload
	s_wait_loadcnt 0x2
	v_mad_co_u64_u32 v[21:22], null, s0, v27, 0
	s_wait_loadcnt 0x1
	v_mad_co_u64_u32 v[24:25], null, s0, v26, 0
	s_delay_alu instid0(VALU_DEP_1) | instskip(NEXT) | instid1(VALU_DEP_1)
	v_mov_b32_e32 v2, v25
	v_mad_co_u64_u32 v[8:9], null, s1, v26, v[2:3]
	s_delay_alu instid0(VALU_DEP_1) | instskip(NEXT) | instid1(VALU_DEP_1)
	v_dual_mov_b32 v16, v23 :: v_dual_mov_b32 v25, v8
	v_lshlrev_b64_e32 v[0:1], 4, v[15:16]
	s_wait_loadcnt 0x0
	v_mad_co_u64_u32 v[16:17], null, s0, v12, 0
	v_mov_b32_e32 v14, v22
	s_delay_alu instid0(VALU_DEP_3) | instskip(SKIP_2) | instid1(VALU_DEP_4)
	v_add_co_u32 v18, vcc_lo, v32, v0
	s_wait_alu 0xfffd
	v_add_co_ci_u32_e32 v19, vcc_lo, v33, v1, vcc_lo
	v_mov_b32_e32 v9, v17
	ds_load_b128 v[0:3], v31 offset:1024
	ds_load_b128 v[4:7], v31 offset:1280
	scratch_load_b32 v28, off, off offset:44 th:TH_LOAD_LU ; 4-byte Folded Reload
	v_mad_co_u64_u32 v[22:23], null, s1, v27, v[14:15]
	v_lshlrev_b64_e32 v[23:24], 4, v[24:25]
	s_delay_alu instid0(VALU_DEP_2) | instskip(NEXT) | instid1(VALU_DEP_1)
	v_lshlrev_b64_e32 v[10:11], 4, v[21:22]
	v_mad_co_u64_u32 v[20:21], null, s1, v12, v[9:10]
	v_add_co_u32 v26, vcc_lo, v32, v10
	s_wait_alu 0xfffd
	s_delay_alu instid0(VALU_DEP_3)
	v_add_co_ci_u32_e32 v27, vcc_lo, v33, v11, vcc_lo
	ds_load_b128 v[8:11], v31 offset:1536
	ds_load_b128 v[12:15], v31 offset:1792
	v_add_co_u32 v23, vcc_lo, v32, v23
	v_mov_b32_e32 v17, v20
	s_wait_alu 0xfffd
	v_add_co_ci_u32_e32 v24, vcc_lo, v33, v24, vcc_lo
	s_wait_dscnt 0x3
	global_store_b128 v[18:19], v[0:3], off
	v_lshlrev_b64_e32 v[16:17], 4, v[16:17]
	s_delay_alu instid0(VALU_DEP_1) | instskip(SKIP_1) | instid1(VALU_DEP_2)
	v_add_co_u32 v16, vcc_lo, v32, v16
	s_wait_alu 0xfffd
	v_add_co_ci_u32_e32 v17, vcc_lo, v33, v17, vcc_lo
	s_wait_loadcnt 0x0
	v_mad_co_u64_u32 v[21:22], null, s0, v28, 0
	s_delay_alu instid0(VALU_DEP_1) | instskip(NEXT) | instid1(VALU_DEP_1)
	v_mov_b32_e32 v20, v22
	v_mad_co_u64_u32 v[28:29], null, s1, v28, v[20:21]
	scratch_load_b32 v20, off, off offset:40 th:TH_LOAD_LU ; 4-byte Folded Reload
	s_wait_dscnt 0x2
	global_store_b128 v[26:27], v[4:7], off
	s_wait_dscnt 0x1
	global_store_b128 v[23:24], v[8:11], off
	;; [unrolled: 2-line block ×3, first 2 shown]
	s_clause 0x2
	scratch_load_b32 v5, off, off offset:36 th:TH_LOAD_LU
	scratch_load_b32 v14, off, off offset:32 th:TH_LOAD_LU
	;; [unrolled: 1-line block ×3, first 2 shown]
	v_mov_b32_e32 v22, v28
	s_delay_alu instid0(VALU_DEP_1) | instskip(NEXT) | instid1(VALU_DEP_1)
	v_lshlrev_b64_e32 v[1:2], 4, v[21:22]
	v_add_co_u32 v22, vcc_lo, v32, v1
	s_wait_alu 0xfffd
	s_delay_alu instid0(VALU_DEP_2)
	v_add_co_ci_u32_e32 v23, vcc_lo, v33, v2, vcc_lo
	s_wait_loadcnt 0x3
	v_mad_co_u64_u32 v[29:30], null, s0, v20, 0
	s_wait_loadcnt 0x2
	v_mad_co_u64_u32 v[8:9], null, s0, v5, 0
	;; [unrolled: 2-line block ×3, first 2 shown]
	s_delay_alu instid0(VALU_DEP_1) | instskip(NEXT) | instid1(VALU_DEP_1)
	v_dual_mov_b32 v0, v30 :: v_dual_mov_b32 v13, v25
	v_mad_co_u64_u32 v[3:4], null, s1, v20, v[0:1]
	v_mad_co_u64_u32 v[20:21], null, s0, v14, 0
	v_mov_b32_e32 v0, v9
	s_delay_alu instid0(VALU_DEP_3) | instskip(NEXT) | instid1(VALU_DEP_2)
	v_mov_b32_e32 v30, v3
	v_mad_co_u64_u32 v[9:10], null, s1, v5, v[0:1]
	s_delay_alu instid0(VALU_DEP_4) | instskip(SKIP_4) | instid1(VALU_DEP_2)
	v_mov_b32_e32 v10, v21
	ds_load_b128 v[0:3], v31 offset:2048
	ds_load_b128 v[4:7], v31 offset:2304
	v_lshlrev_b64_e32 v[11:12], 4, v[29:30]
	v_lshlrev_b64_e32 v[28:29], 4, v[8:9]
	v_mad_co_u64_u32 v[14:15], null, s1, v14, v[10:11]
	s_delay_alu instid0(VALU_DEP_1)
	v_mov_b32_e32 v21, v14
	v_mad_co_u64_u32 v[25:26], null, s1, v16, v[13:14]
	v_add_co_u32 v26, vcc_lo, v32, v11
	s_wait_alu 0xfffd
	v_add_co_ci_u32_e32 v27, vcc_lo, v33, v12, vcc_lo
	ds_load_b128 v[8:11], v31 offset:2560
	ds_load_b128 v[12:15], v31 offset:2816
	;; [unrolled: 1-line block ×3, first 2 shown]
	v_lshlrev_b64_e32 v[20:21], 4, v[20:21]
	v_add_co_u32 v28, vcc_lo, v32, v28
	v_lshlrev_b64_e32 v[24:25], 4, v[24:25]
	s_wait_alu 0xfffd
	v_add_co_ci_u32_e32 v29, vcc_lo, v33, v29, vcc_lo
	s_delay_alu instid0(VALU_DEP_4)
	v_add_co_u32 v20, vcc_lo, v32, v20
	s_wait_alu 0xfffd
	v_add_co_ci_u32_e32 v21, vcc_lo, v33, v21, vcc_lo
	v_add_co_u32 v24, vcc_lo, v32, v24
	s_wait_alu 0xfffd
	v_add_co_ci_u32_e32 v25, vcc_lo, v33, v25, vcc_lo
	s_wait_dscnt 0x4
	global_store_b128 v[22:23], v[0:3], off
	s_wait_dscnt 0x3
	global_store_b128 v[26:27], v[4:7], off
	;; [unrolled: 2-line block ×5, first 2 shown]
.LBB0_23:
	s_nop 0
	s_sendmsg sendmsg(MSG_DEALLOC_VGPRS)
	s_endpgm
	.section	.rodata,"a",@progbits
	.p2align	6, 0x0
	.amdhsa_kernel fft_rtc_back_len208_factors_13_16_wgs_144_tpt_16_dp_ip_CI_sbcc_twdbase6_3step
		.amdhsa_group_segment_fixed_size 0
		.amdhsa_private_segment_fixed_size 88
		.amdhsa_kernarg_size 96
		.amdhsa_user_sgpr_count 2
		.amdhsa_user_sgpr_dispatch_ptr 0
		.amdhsa_user_sgpr_queue_ptr 0
		.amdhsa_user_sgpr_kernarg_segment_ptr 1
		.amdhsa_user_sgpr_dispatch_id 0
		.amdhsa_user_sgpr_private_segment_size 0
		.amdhsa_wavefront_size32 1
		.amdhsa_uses_dynamic_stack 0
		.amdhsa_enable_private_segment 1
		.amdhsa_system_sgpr_workgroup_id_x 1
		.amdhsa_system_sgpr_workgroup_id_y 0
		.amdhsa_system_sgpr_workgroup_id_z 0
		.amdhsa_system_sgpr_workgroup_info 0
		.amdhsa_system_vgpr_workitem_id 0
		.amdhsa_next_free_vgpr 256
		.amdhsa_next_free_sgpr 49
		.amdhsa_reserve_vcc 1
		.amdhsa_float_round_mode_32 0
		.amdhsa_float_round_mode_16_64 0
		.amdhsa_float_denorm_mode_32 3
		.amdhsa_float_denorm_mode_16_64 3
		.amdhsa_fp16_overflow 0
		.amdhsa_workgroup_processor_mode 1
		.amdhsa_memory_ordered 1
		.amdhsa_forward_progress 0
		.amdhsa_round_robin_scheduling 0
		.amdhsa_exception_fp_ieee_invalid_op 0
		.amdhsa_exception_fp_denorm_src 0
		.amdhsa_exception_fp_ieee_div_zero 0
		.amdhsa_exception_fp_ieee_overflow 0
		.amdhsa_exception_fp_ieee_underflow 0
		.amdhsa_exception_fp_ieee_inexact 0
		.amdhsa_exception_int_div_zero 0
	.end_amdhsa_kernel
	.text
.Lfunc_end0:
	.size	fft_rtc_back_len208_factors_13_16_wgs_144_tpt_16_dp_ip_CI_sbcc_twdbase6_3step, .Lfunc_end0-fft_rtc_back_len208_factors_13_16_wgs_144_tpt_16_dp_ip_CI_sbcc_twdbase6_3step
                                        ; -- End function
	.section	.AMDGPU.csdata,"",@progbits
; Kernel info:
; codeLenInByte = 12916
; NumSgprs: 51
; NumVgprs: 256
; ScratchSize: 88
; MemoryBound: 0
; FloatMode: 240
; IeeeMode: 1
; LDSByteSize: 0 bytes/workgroup (compile time only)
; SGPRBlocks: 6
; VGPRBlocks: 31
; NumSGPRsForWavesPerEU: 51
; NumVGPRsForWavesPerEU: 256
; Occupancy: 5
; WaveLimiterHint : 1
; COMPUTE_PGM_RSRC2:SCRATCH_EN: 1
; COMPUTE_PGM_RSRC2:USER_SGPR: 2
; COMPUTE_PGM_RSRC2:TRAP_HANDLER: 0
; COMPUTE_PGM_RSRC2:TGID_X_EN: 1
; COMPUTE_PGM_RSRC2:TGID_Y_EN: 0
; COMPUTE_PGM_RSRC2:TGID_Z_EN: 0
; COMPUTE_PGM_RSRC2:TIDIG_COMP_CNT: 0
	.text
	.p2alignl 7, 3214868480
	.fill 96, 4, 3214868480
	.type	__hip_cuid_a0cd120dfcd6c97c,@object ; @__hip_cuid_a0cd120dfcd6c97c
	.section	.bss,"aw",@nobits
	.globl	__hip_cuid_a0cd120dfcd6c97c
__hip_cuid_a0cd120dfcd6c97c:
	.byte	0                               ; 0x0
	.size	__hip_cuid_a0cd120dfcd6c97c, 1

	.ident	"AMD clang version 19.0.0git (https://github.com/RadeonOpenCompute/llvm-project roc-6.4.0 25133 c7fe45cf4b819c5991fe208aaa96edf142730f1d)"
	.section	".note.GNU-stack","",@progbits
	.addrsig
	.addrsig_sym __hip_cuid_a0cd120dfcd6c97c
	.amdgpu_metadata
---
amdhsa.kernels:
  - .args:
      - .actual_access:  read_only
        .address_space:  global
        .offset:         0
        .size:           8
        .value_kind:     global_buffer
      - .address_space:  global
        .offset:         8
        .size:           8
        .value_kind:     global_buffer
      - .offset:         16
        .size:           8
        .value_kind:     by_value
      - .actual_access:  read_only
        .address_space:  global
        .offset:         24
        .size:           8
        .value_kind:     global_buffer
      - .actual_access:  read_only
        .address_space:  global
        .offset:         32
        .size:           8
        .value_kind:     global_buffer
      - .offset:         40
        .size:           8
        .value_kind:     by_value
      - .actual_access:  read_only
        .address_space:  global
        .offset:         48
        .size:           8
        .value_kind:     global_buffer
      - .actual_access:  read_only
        .address_space:  global
        .offset:         56
        .size:           8
        .value_kind:     global_buffer
      - .offset:         64
        .size:           4
        .value_kind:     by_value
      - .actual_access:  read_only
        .address_space:  global
        .offset:         72
        .size:           8
        .value_kind:     global_buffer
      - .actual_access:  read_only
        .address_space:  global
        .offset:         80
        .size:           8
        .value_kind:     global_buffer
      - .address_space:  global
        .offset:         88
        .size:           8
        .value_kind:     global_buffer
    .group_segment_fixed_size: 0
    .kernarg_segment_align: 8
    .kernarg_segment_size: 96
    .language:       OpenCL C
    .language_version:
      - 2
      - 0
    .max_flat_workgroup_size: 144
    .name:           fft_rtc_back_len208_factors_13_16_wgs_144_tpt_16_dp_ip_CI_sbcc_twdbase6_3step
    .private_segment_fixed_size: 88
    .sgpr_count:     51
    .sgpr_spill_count: 0
    .symbol:         fft_rtc_back_len208_factors_13_16_wgs_144_tpt_16_dp_ip_CI_sbcc_twdbase6_3step.kd
    .uniform_work_group_size: 1
    .uses_dynamic_stack: false
    .vgpr_count:     256
    .vgpr_spill_count: 25
    .wavefront_size: 32
    .workgroup_processor_mode: 1
amdhsa.target:   amdgcn-amd-amdhsa--gfx1201
amdhsa.version:
  - 1
  - 2
...

	.end_amdgpu_metadata
